;; amdgpu-corpus repo=ROCm/rocSPARSE kind=compiled arch=gfx90a opt=O3
	.text
	.amdgcn_target "amdgcn-amd-amdhsa--gfx90a"
	.amdhsa_code_object_version 6
	.section	.text._ZN9rocsparseL30bellmm_general_blockdim_kernelILi32ELi32EiiiiiEEv20rocsparse_operation_S1_20rocsparse_direction_T2_S3_NS_24const_host_device_scalarIT1_EES3_S3_PKS3_PKT3_PKT4_l16rocsparse_order_S6_PT5_lSF_21rocsparse_index_base_b,"axG",@progbits,_ZN9rocsparseL30bellmm_general_blockdim_kernelILi32ELi32EiiiiiEEv20rocsparse_operation_S1_20rocsparse_direction_T2_S3_NS_24const_host_device_scalarIT1_EES3_S3_PKS3_PKT3_PKT4_l16rocsparse_order_S6_PT5_lSF_21rocsparse_index_base_b,comdat
	.globl	_ZN9rocsparseL30bellmm_general_blockdim_kernelILi32ELi32EiiiiiEEv20rocsparse_operation_S1_20rocsparse_direction_T2_S3_NS_24const_host_device_scalarIT1_EES3_S3_PKS3_PKT3_PKT4_l16rocsparse_order_S6_PT5_lSF_21rocsparse_index_base_b ; -- Begin function _ZN9rocsparseL30bellmm_general_blockdim_kernelILi32ELi32EiiiiiEEv20rocsparse_operation_S1_20rocsparse_direction_T2_S3_NS_24const_host_device_scalarIT1_EES3_S3_PKS3_PKT3_PKT4_l16rocsparse_order_S6_PT5_lSF_21rocsparse_index_base_b
	.p2align	8
	.type	_ZN9rocsparseL30bellmm_general_blockdim_kernelILi32ELi32EiiiiiEEv20rocsparse_operation_S1_20rocsparse_direction_T2_S3_NS_24const_host_device_scalarIT1_EES3_S3_PKS3_PKT3_PKT4_l16rocsparse_order_S6_PT5_lSF_21rocsparse_index_base_b,@function
_ZN9rocsparseL30bellmm_general_blockdim_kernelILi32ELi32EiiiiiEEv20rocsparse_operation_S1_20rocsparse_direction_T2_S3_NS_24const_host_device_scalarIT1_EES3_S3_PKS3_PKT3_PKT4_l16rocsparse_order_S6_PT5_lSF_21rocsparse_index_base_b: ; @_ZN9rocsparseL30bellmm_general_blockdim_kernelILi32ELi32EiiiiiEEv20rocsparse_operation_S1_20rocsparse_direction_T2_S3_NS_24const_host_device_scalarIT1_EES3_S3_PKS3_PKT3_PKT4_l16rocsparse_order_S6_PT5_lSF_21rocsparse_index_base_b
; %bb.0:
	s_load_dwordx4 s[16:19], s[4:5], 0x68
	s_load_dwordx2 s[8:9], s[4:5], 0x18
	s_mov_b64 s[10:11], -1
                                        ; implicit-def: $sgpr33
	s_waitcnt lgkmcnt(0)
	s_bitcmp1_b32 s18, 0
	s_cselect_b64 s[0:1], -1, 0
	s_xor_b64 s[2:3], s[0:1], -1
	s_and_b64 vcc, exec, s[2:3]
	s_cbranch_vccnz .LBB0_4
; %bb.1:
	s_load_dwordx2 s[0:1], s[4:5], 0x50
	s_andn2_b64 vcc, exec, s[10:11]
	s_cbranch_vccz .LBB0_5
.LBB0_2:
	s_and_b64 vcc, exec, s[2:3]
	s_cbranch_vccz .LBB0_6
.LBB0_3:
	s_waitcnt lgkmcnt(0)
	s_load_dword s46, s[0:1], 0x0
	s_cbranch_execz .LBB0_7
	s_branch .LBB0_8
.LBB0_4:
	s_load_dword s33, s[8:9], 0x0
	s_load_dwordx2 s[0:1], s[4:5], 0x50
	s_cbranch_execnz .LBB0_2
.LBB0_5:
	s_waitcnt lgkmcnt(0)
	s_mov_b32 s33, s8
	s_and_b64 vcc, exec, s[2:3]
	s_cbranch_vccnz .LBB0_3
.LBB0_6:
                                        ; implicit-def: $sgpr46
.LBB0_7:
	s_waitcnt lgkmcnt(0)
	s_mov_b32 s46, s0
.LBB0_8:
	s_waitcnt lgkmcnt(0)
	s_cmp_eq_u32 s33, 0
	s_cselect_b64 s[0:1], -1, 0
	s_cmp_eq_u32 s46, 1
	s_cselect_b64 s[2:3], -1, 0
	s_and_b64 s[0:1], s[0:1], s[2:3]
	s_mov_b32 s47, 0
	s_and_b64 vcc, exec, s[0:1]
	s_cbranch_vccnz .LBB0_50
; %bb.9:
	s_load_dwordx4 s[20:23], s[4:5], 0x4
	s_load_dwordx2 s[18:19], s[4:5], 0x20
	s_waitcnt lgkmcnt(0)
	s_cmp_lt_i32 s6, s22
	s_cselect_b64 s[2:3], -1, 0
	s_cmp_ge_i32 s6, s22
	s_cbranch_scc1 .LBB0_11
; %bb.10:
	s_abs_i32 s0, s19
	v_cvt_f32_u32_e32 v1, s0
	s_sub_i32 s9, 0, s0
	s_abs_i32 s8, s18
	s_xor_b32 s1, s18, s19
	v_rcp_iflag_f32_e32 v1, v1
	s_ashr_i32 s1, s1, 31
	v_mul_f32_e32 v1, 0x4f7ffffe, v1
	v_cvt_u32_f32_e32 v1, v1
	v_readfirstlane_b32 s10, v1
	s_mul_i32 s9, s9, s10
	s_mul_hi_u32 s9, s10, s9
	s_add_i32 s10, s10, s9
	s_mul_hi_u32 s9, s8, s10
	s_mul_i32 s10, s9, s0
	s_sub_i32 s8, s8, s10
	s_add_i32 s11, s9, 1
	s_sub_i32 s10, s8, s0
	s_cmp_ge_u32 s8, s0
	s_cselect_b32 s9, s11, s9
	s_cselect_b32 s8, s10, s8
	s_add_i32 s10, s9, 1
	s_cmp_ge_u32 s8, s0
	s_cselect_b32 s0, s10, s9
	s_xor_b32 s0, s0, s1
	s_sub_i32 s47, s0, s1
.LBB0_11:
	s_cmp_lt_i32 s19, 1
	s_cbranch_scc1 .LBB0_50
; %bb.12:
	s_load_dwordx8 s[8:15], s[4:5], 0x28
	v_bfe_u32 v2, v0, 10, 10
	v_lshl_add_u32 v4, s7, 5, v2
	s_load_dwordx4 s[24:27], s[4:5], 0x58
	s_load_dword s28, s[4:5], 0x48
	v_ashrrev_i32_e32 v5, 31, v4
	v_and_b32_e32 v3, 0x3ff, v0
	s_waitcnt lgkmcnt(0)
	v_mul_lo_u32 v6, v5, s14
	v_mul_lo_u32 v7, v4, s15
	v_mad_u64_u32 v[0:1], s[0:1], v4, s14, 0
	v_add3_u32 v1, v1, v7, v6
	s_cmp_gt_i32 s47, 0
	v_lshlrev_b64 v[6:7], 2, v[4:5]
	s_cselect_b64 s[4:5], -1, 0
	v_mov_b32_e32 v8, s13
	v_add_co_u32_e32 v14, vcc, s12, v6
	s_cmpk_eq_i32 s20, 0x6f
	v_addc_co_u32_e32 v15, vcc, v8, v7, vcc
	s_cselect_b64 s[34:35], -1, 0
	s_cmp_lg_u32 s28, 1
	v_lshlrev_b64 v[0:1], 2, v[0:1]
	s_cselect_b64 s[36:37], -1, 0
	v_add_co_u32_e32 v18, vcc, s12, v0
	s_cmp_lg_u32 s21, 0
	v_cmp_gt_i32_e64 s[0:1], s23, v4
	v_lshlrev_b32_e32 v6, 5, v2
	v_addc_co_u32_e32 v19, vcc, v8, v1, vcc
	s_cselect_b64 s[12:13], -1, 0
	s_cmp_lg_u32 s16, 1
	v_mad_u64_u32 v[0:1], s[28:29], v4, s26, 0
	v_add_lshl_u32 v16, v6, v3, 2
	s_cselect_b64 s[20:21], -1, 0
	v_mul_lo_u32 v6, v5, s26
	v_mul_lo_u32 v7, v4, s27
	s_and_b64 s[28:29], s[2:3], s[0:1]
	s_mul_i32 s7, s6, s19
	v_add3_u32 v1, v1, v7, v6
	s_cmp_lg_u32 s46, 0
	v_mov_b32_e32 v6, 0x1000
	s_cselect_b64 s[30:31], -1, 0
	s_xor_b64 s[2:3], s[34:35], s[36:37]
	v_lshl_add_u32 v21, v2, 7, v6
	v_add_u32_e32 v6, s7, v3
	s_xor_b64 s[34:35], s[2:3], -1
	v_mad_u64_u32 v[6:7], s[2:3], s19, v6, v[2:3]
	s_mul_i32 s23, s19, s19
	v_cndmask_b32_e64 v7, 0, 1, s[4:5]
	s_mov_b32 s18, 0
	v_add_u32_e32 v17, 0x1000, v16
	v_lshlrev_b32_e32 v20, 2, v3
	s_lshl_b32 s16, s19, 5
	s_mul_i32 s23, s23, s22
	v_cmp_ne_u32_e64 s[2:3], 1, v7
	v_mov_b32_e32 v9, 0
	s_branch .LBB0_14
.LBB0_13:                               ;   in Loop: Header=BB0_14 Depth=1
	s_or_b64 exec, exec, s[4:5]
	s_add_i32 s18, s18, 32
	s_cmp_lt_i32 s18, s19
	v_add_u32_e32 v6, s16, v6
	s_cbranch_scc0 .LBB0_50
.LBB0_14:                               ; =>This Loop Header: Depth=1
                                        ;     Child Loop BB0_17 Depth 2
                                        ;       Child Loop BB0_19 Depth 3
	v_add_u32_e32 v10, s18, v3
	s_and_b64 vcc, exec, s[2:3]
	v_cmp_gt_i32_e64 s[4:5], s19, v10
	v_mov_b32_e32 v7, v9
	s_cbranch_vccnz .LBB0_41
; %bb.15:                               ;   in Loop: Header=BB0_14 Depth=1
	s_mov_b32 s48, 0
	v_mov_b32_e32 v7, 0
	v_mov_b32_e32 v11, v6
	s_branch .LBB0_17
.LBB0_16:                               ;   in Loop: Header=BB0_17 Depth=2
	s_add_i32 s48, s48, 1
	s_cmp_eq_u32 s48, s47
	v_add_u32_e32 v11, s23, v11
	s_cbranch_scc1 .LBB0_41
.LBB0_17:                               ;   Parent Loop BB0_14 Depth=1
                                        ; =>  This Loop Header: Depth=2
                                        ;       Child Loop BB0_19 Depth 3
	s_mul_i32 s36, s48, s22
	s_add_i32 s36, s36, s6
	s_ashr_i32 s37, s36, 31
	s_lshl_b64 s[38:39], s[36:37], 2
	s_add_u32 s38, s8, s38
	s_addc_u32 s39, s9, s39
	s_load_dword s37, s[38:39], 0x0
	s_mul_i32 s49, s36, s19
	s_mov_b32 s50, 0
	s_waitcnt lgkmcnt(0)
	s_sub_i32 s36, s37, s17
	s_cmp_gt_i32 s36, -1
	s_mul_i32 s38, s36, s19
	s_cselect_b64 s[36:37], -1, 0
	v_add_u32_e32 v22, s38, v3
	s_branch .LBB0_19
.LBB0_18:                               ;   in Loop: Header=BB0_19 Depth=3
	s_add_i32 s50, s50, 32
	s_cmp_ge_i32 s50, s19
	s_barrier
	s_cbranch_scc1 .LBB0_16
.LBB0_19:                               ;   Parent Loop BB0_14 Depth=1
                                        ;     Parent Loop BB0_17 Depth=2
                                        ; =>    This Inner Loop Header: Depth=3
	v_add_u32_e32 v8, s50, v3
	v_cmp_gt_i32_e32 vcc, s19, v8
	s_and_b64 s[38:39], s[0:1], vcc
	s_and_b64 s[40:41], s[38:39], s[36:37]
	s_and_b64 vcc, exec, s[34:35]
	s_cbranch_vccz .LBB0_23
; %bb.20:                               ;   in Loop: Header=BB0_19 Depth=3
	s_mov_b64 s[42:43], 0
	s_mov_b64 s[38:39], 0
                                        ; implicit-def: $vgpr12_vgpr13
	s_and_saveexec_b64 s[44:45], s[40:41]
	s_xor_b64 s[44:45], exec, s[44:45]
; %bb.21:                               ;   in Loop: Header=BB0_19 Depth=3
	v_add_u32_e32 v23, s50, v22
	v_mad_u64_u32 v[12:13], s[52:53], v23, s14, 0
	v_mov_b32_e32 v8, v13
	v_mad_u64_u32 v[24:25], s[52:53], v23, s15, v[8:9]
	v_mov_b32_e32 v13, v24
	v_lshlrev_b64 v[12:13], 2, v[12:13]
	v_add_co_u32_e32 v12, vcc, v14, v12
	s_mov_b64 s[38:39], exec
	v_addc_co_u32_e32 v13, vcc, v15, v13, vcc
; %bb.22:                               ;   in Loop: Header=BB0_19 Depth=3
	s_or_b64 exec, exec, s[44:45]
	s_mov_b32 s44, 0
	s_and_b64 vcc, exec, s[42:43]
	s_cbranch_vccnz .LBB0_24
	s_branch .LBB0_27
.LBB0_23:                               ;   in Loop: Header=BB0_19 Depth=3
	s_mov_b64 s[38:39], 0
                                        ; implicit-def: $vgpr12_vgpr13
                                        ; implicit-def: $sgpr44
	s_cbranch_execz .LBB0_27
.LBB0_24:                               ;   in Loop: Header=BB0_19 Depth=3
                                        ; implicit-def: $vgpr12_vgpr13
	s_and_saveexec_b64 s[42:43], s[40:41]
; %bb.25:                               ;   in Loop: Header=BB0_19 Depth=3
	v_add_u32_e32 v8, s50, v22
	v_lshlrev_b64 v[12:13], 2, v[8:9]
	v_add_co_u32_e32 v12, vcc, v18, v12
	v_addc_co_u32_e32 v13, vcc, v19, v13, vcc
	s_or_b64 s[38:39], s[38:39], exec
; %bb.26:                               ;   in Loop: Header=BB0_19 Depth=3
	s_or_b64 exec, exec, s[42:43]
	s_mov_b32 s44, 0
.LBB0_27:                               ;   in Loop: Header=BB0_19 Depth=3
	v_mov_b32_e32 v23, s44
	s_and_saveexec_b64 s[40:41], s[38:39]
	s_cbranch_execz .LBB0_29
; %bb.28:                               ;   in Loop: Header=BB0_19 Depth=3
	global_load_dword v23, v[12:13], off
.LBB0_29:                               ;   in Loop: Header=BB0_19 Depth=3
	s_or_b64 exec, exec, s[40:41]
	v_add_u32_e32 v8, s50, v2
	v_cmp_gt_i32_e32 vcc, s19, v8
	s_and_b64 s[38:39], s[4:5], vcc
	s_and_b64 s[40:41], s[38:39], s[36:37]
	s_and_b64 vcc, exec, s[12:13]
	s_waitcnt vmcnt(0)
	ds_write_b32 v17, v23
	s_cbranch_vccz .LBB0_37
; %bb.30:                               ;   in Loop: Header=BB0_19 Depth=3
	s_mov_b64 s[42:43], 0
	s_mov_b64 s[38:39], 0
                                        ; implicit-def: $vgpr12
	s_and_saveexec_b64 s[44:45], s[40:41]
	s_xor_b64 s[44:45], exec, s[44:45]
; %bb.31:                               ;   in Loop: Header=BB0_19 Depth=3
	v_add_u32_e32 v8, s49, v8
	s_mov_b64 s[38:39], exec
	v_mad_u64_u32 v[12:13], s[52:53], v8, s19, v[10:11]
; %bb.32:                               ;   in Loop: Header=BB0_19 Depth=3
	s_or_b64 exec, exec, s[44:45]
	s_mov_b32 s44, 0
	s_and_b64 vcc, exec, s[42:43]
	s_cbranch_vccnz .LBB0_38
.LBB0_33:                               ;   in Loop: Header=BB0_19 Depth=3
	v_mov_b32_e32 v8, s44
	s_and_saveexec_b64 s[40:41], s[38:39]
	s_cbranch_execz .LBB0_35
.LBB0_34:                               ;   in Loop: Header=BB0_19 Depth=3
	v_ashrrev_i32_e32 v13, 31, v12
	v_lshlrev_b64 v[12:13], 2, v[12:13]
	v_mov_b32_e32 v8, s11
	v_add_co_u32_e32 v12, vcc, s10, v12
	v_addc_co_u32_e32 v13, vcc, v8, v13, vcc
	global_load_dword v8, v[12:13], off
.LBB0_35:                               ;   in Loop: Header=BB0_19 Depth=3
	s_or_b64 exec, exec, s[40:41]
	s_andn2_b64 vcc, exec, s[36:37]
	s_waitcnt vmcnt(0)
	ds_write_b32 v16, v8
	s_waitcnt lgkmcnt(0)
	s_barrier
	s_cbranch_vccnz .LBB0_18
; %bb.36:                               ;   in Loop: Header=BB0_19 Depth=3
	ds_read2_b32 v[12:13], v20 offset1:32
	ds_read2_b32 v[40:41], v20 offset0:64 offset1:96
	ds_read_b128 v[24:27], v21
	ds_read_b128 v[28:31], v21 offset:16
	ds_read_b128 v[32:35], v21 offset:32
	;; [unrolled: 1-line block ×3, first 2 shown]
	ds_read2_b32 v[42:43], v20 offset0:192 offset1:224
	s_waitcnt lgkmcnt(4)
	v_mul_lo_u32 v23, v26, v40
	v_mul_lo_u32 v56, v24, v12
	;; [unrolled: 1-line block ×3, first 2 shown]
	ds_read2_b32 v[26:27], v20 offset0:128 offset1:160
	v_add_u32_e32 v24, 0x400, v20
	s_waitcnt lgkmcnt(1)
	v_mul_lo_u32 v57, v30, v42
	ds_read2_b32 v[40:41], v24 offset0:64 offset1:96
	ds_read2_b32 v[48:49], v24 offset1:32
	v_mul_lo_u32 v12, v31, v43
	ds_read2_b32 v[30:31], v24 offset0:192 offset1:224
	s_waitcnt lgkmcnt(3)
	v_mul_lo_u32 v58, v28, v26
	s_waitcnt lgkmcnt(2)
	v_mul_lo_u32 v59, v34, v40
	v_mul_lo_u32 v28, v35, v41
	ds_read2_b32 v[34:35], v24 offset0:128 offset1:160
	v_add_u32_e32 v24, 0x800, v20
	s_waitcnt lgkmcnt(2)
	v_mul_lo_u32 v60, v32, v48
	s_waitcnt lgkmcnt(1)
	v_mul_lo_u32 v61, v38, v30
	ds_read2_b32 v[50:51], v24 offset0:64 offset1:96
	ds_read_b128 v[40:43], v21 offset:64
	v_mul_lo_u32 v32, v39, v31
	ds_read2_b32 v[38:39], v24 offset1:32
	ds_read_b128 v[44:47], v21 offset:80
	ds_read2_b32 v[52:53], v24 offset0:128 offset1:160
	ds_read2_b32 v[30:31], v24 offset0:192 offset1:224
	s_waitcnt lgkmcnt(6)
	v_mul_lo_u32 v36, v36, v34
	s_waitcnt lgkmcnt(4)
	v_mul_lo_u32 v62, v42, v50
	v_mad_u64_u32 v[54:55], s[38:39], v25, v13, v[8:9]
	s_waitcnt lgkmcnt(1)
	v_mul_lo_u32 v44, v44, v52
	v_add_u32_e32 v52, 0xc00, v20
	v_mul_lo_u32 v38, v40, v38
	v_mul_lo_u32 v8, v43, v51
	s_waitcnt lgkmcnt(0)
	v_mul_lo_u32 v40, v46, v30
	v_mul_lo_u32 v34, v47, v31
	ds_read2_b32 v[42:43], v52 offset0:64 offset1:96
	v_mad_u64_u32 v[12:13], s[38:39], v29, v27, v[12:13]
	ds_read_b128 v[24:27], v21 offset:96
	ds_read2_b32 v[46:47], v52 offset1:32
	v_mad_u64_u32 v[48:49], s[38:39], v33, v49, v[28:29]
	ds_read_b128 v[28:31], v21 offset:112
	v_add3_u32 v23, v56, v23, v54
	ds_read2_b32 v[50:51], v52 offset0:192 offset1:224
	ds_read2_b32 v[54:55], v52 offset0:128 offset1:160
	s_waitcnt lgkmcnt(4)
	v_mul_lo_u32 v13, v26, v42
	s_waitcnt lgkmcnt(3)
	v_mul_lo_u32 v33, v24, v46
	v_mul_lo_u32 v24, v27, v43
	v_add3_u32 v26, v58, v57, v12
	v_add3_u32 v27, v60, v59, v48
	;; [unrolled: 1-line block ×3, first 2 shown]
	v_mad_u64_u32 v[26:27], s[38:39], v37, v35, v[32:33]
	s_waitcnt lgkmcnt(1)
	v_mul_lo_u32 v12, v31, v51
	v_add3_u32 v31, v36, v61, v26
	v_mad_u64_u32 v[26:27], s[38:39], v41, v39, v[8:9]
	v_add3_u32 v8, v38, v62, v26
	v_mad_u64_u32 v[26:27], s[38:39], v45, v53, v[34:35]
	v_mad_u64_u32 v[24:25], s[38:39], v25, v47, v[24:25]
	v_add3_u32 v8, v23, v31, v8
	v_add3_u32 v23, v44, v40, v26
	;; [unrolled: 1-line block ×3, first 2 shown]
	v_mul_lo_u32 v30, v30, v50
	s_waitcnt lgkmcnt(0)
	v_mul_lo_u32 v28, v28, v54
	v_add3_u32 v8, v8, v23, v13
	v_mad_u64_u32 v[12:13], s[38:39], v29, v55, v[12:13]
	v_add3_u32 v12, v28, v30, v12
	v_add3_u32 v7, v8, v12, v7
	s_branch .LBB0_18
.LBB0_37:                               ;   in Loop: Header=BB0_19 Depth=3
	s_mov_b64 s[38:39], 0
                                        ; implicit-def: $vgpr12
                                        ; implicit-def: $sgpr44
	s_cbranch_execz .LBB0_33
.LBB0_38:                               ;   in Loop: Header=BB0_19 Depth=3
                                        ; implicit-def: $vgpr12
	s_and_saveexec_b64 s[42:43], s[40:41]
; %bb.39:                               ;   in Loop: Header=BB0_19 Depth=3
	v_add_u32_e32 v12, s50, v11
	s_or_b64 s[38:39], s[38:39], exec
; %bb.40:                               ;   in Loop: Header=BB0_19 Depth=3
	s_or_b64 exec, exec, s[42:43]
	s_mov_b32 s44, 0
	v_mov_b32_e32 v8, s44
	s_and_saveexec_b64 s[40:41], s[38:39]
	s_cbranch_execnz .LBB0_34
	s_branch .LBB0_35
.LBB0_41:                               ;   in Loop: Header=BB0_14 Depth=1
	v_add_u32_e32 v8, s7, v10
	v_ashrrev_i32_e32 v11, 31, v8
	s_and_b64 vcc, exec, s[20:21]
	s_cbranch_vccz .LBB0_43
; %bb.42:                               ;   in Loop: Header=BB0_14 Depth=1
	v_mad_u64_u32 v[12:13], s[4:5], v8, s26, v[4:5]
	v_mul_lo_u32 v22, v8, s27
	v_mul_lo_u32 v23, v11, s26
	v_add3_u32 v13, v23, v13, v22
	s_cbranch_execz .LBB0_44
	s_branch .LBB0_45
.LBB0_43:                               ;   in Loop: Header=BB0_14 Depth=1
                                        ; implicit-def: $vgpr12_vgpr13
.LBB0_44:                               ;   in Loop: Header=BB0_14 Depth=1
	v_add_co_u32_e32 v12, vcc, v0, v8
	v_addc_co_u32_e32 v13, vcc, v1, v11, vcc
.LBB0_45:                               ;   in Loop: Header=BB0_14 Depth=1
	v_cmp_gt_i32_e32 vcc, s19, v10
	s_and_b64 s[36:37], s[28:29], vcc
	s_and_saveexec_b64 s[4:5], s[36:37]
	s_cbranch_execz .LBB0_13
; %bb.46:                               ;   in Loop: Header=BB0_14 Depth=1
	s_and_b64 vcc, exec, s[30:31]
	v_lshlrev_b64 v[10:11], 2, v[12:13]
	v_mul_lo_u32 v8, v7, s33
	s_cbranch_vccz .LBB0_48
; %bb.47:                               ;   in Loop: Header=BB0_14 Depth=1
	v_mov_b32_e32 v7, s25
	v_add_co_u32_e32 v12, vcc, s24, v10
	v_addc_co_u32_e32 v13, vcc, v7, v11, vcc
	global_load_dword v7, v[12:13], off
	s_waitcnt vmcnt(0)
	v_mad_u64_u32 v[22:23], s[36:37], v7, s46, v[8:9]
	global_store_dword v[12:13], v22, off
	s_cbranch_execnz .LBB0_13
	s_branch .LBB0_49
.LBB0_48:                               ;   in Loop: Header=BB0_14 Depth=1
.LBB0_49:                               ;   in Loop: Header=BB0_14 Depth=1
	v_mov_b32_e32 v7, s25
	v_add_co_u32_e32 v10, vcc, s24, v10
	v_addc_co_u32_e32 v11, vcc, v7, v11, vcc
	global_store_dword v[10:11], v8, off
	s_branch .LBB0_13
.LBB0_50:
	s_endpgm
	.section	.rodata,"a",@progbits
	.p2align	6, 0x0
	.amdhsa_kernel _ZN9rocsparseL30bellmm_general_blockdim_kernelILi32ELi32EiiiiiEEv20rocsparse_operation_S1_20rocsparse_direction_T2_S3_NS_24const_host_device_scalarIT1_EES3_S3_PKS3_PKT3_PKT4_l16rocsparse_order_S6_PT5_lSF_21rocsparse_index_base_b
		.amdhsa_group_segment_fixed_size 8192
		.amdhsa_private_segment_fixed_size 0
		.amdhsa_kernarg_size 116
		.amdhsa_user_sgpr_count 6
		.amdhsa_user_sgpr_private_segment_buffer 1
		.amdhsa_user_sgpr_dispatch_ptr 0
		.amdhsa_user_sgpr_queue_ptr 0
		.amdhsa_user_sgpr_kernarg_segment_ptr 1
		.amdhsa_user_sgpr_dispatch_id 0
		.amdhsa_user_sgpr_flat_scratch_init 0
		.amdhsa_user_sgpr_kernarg_preload_length 0
		.amdhsa_user_sgpr_kernarg_preload_offset 0
		.amdhsa_user_sgpr_private_segment_size 0
		.amdhsa_uses_dynamic_stack 0
		.amdhsa_system_sgpr_private_segment_wavefront_offset 0
		.amdhsa_system_sgpr_workgroup_id_x 1
		.amdhsa_system_sgpr_workgroup_id_y 1
		.amdhsa_system_sgpr_workgroup_id_z 0
		.amdhsa_system_sgpr_workgroup_info 0
		.amdhsa_system_vgpr_workitem_id 1
		.amdhsa_next_free_vgpr 63
		.amdhsa_next_free_sgpr 54
		.amdhsa_accum_offset 64
		.amdhsa_reserve_vcc 1
		.amdhsa_reserve_flat_scratch 0
		.amdhsa_float_round_mode_32 0
		.amdhsa_float_round_mode_16_64 0
		.amdhsa_float_denorm_mode_32 3
		.amdhsa_float_denorm_mode_16_64 3
		.amdhsa_dx10_clamp 1
		.amdhsa_ieee_mode 1
		.amdhsa_fp16_overflow 0
		.amdhsa_tg_split 0
		.amdhsa_exception_fp_ieee_invalid_op 0
		.amdhsa_exception_fp_denorm_src 0
		.amdhsa_exception_fp_ieee_div_zero 0
		.amdhsa_exception_fp_ieee_overflow 0
		.amdhsa_exception_fp_ieee_underflow 0
		.amdhsa_exception_fp_ieee_inexact 0
		.amdhsa_exception_int_div_zero 0
	.end_amdhsa_kernel
	.section	.text._ZN9rocsparseL30bellmm_general_blockdim_kernelILi32ELi32EiiiiiEEv20rocsparse_operation_S1_20rocsparse_direction_T2_S3_NS_24const_host_device_scalarIT1_EES3_S3_PKS3_PKT3_PKT4_l16rocsparse_order_S6_PT5_lSF_21rocsparse_index_base_b,"axG",@progbits,_ZN9rocsparseL30bellmm_general_blockdim_kernelILi32ELi32EiiiiiEEv20rocsparse_operation_S1_20rocsparse_direction_T2_S3_NS_24const_host_device_scalarIT1_EES3_S3_PKS3_PKT3_PKT4_l16rocsparse_order_S6_PT5_lSF_21rocsparse_index_base_b,comdat
.Lfunc_end0:
	.size	_ZN9rocsparseL30bellmm_general_blockdim_kernelILi32ELi32EiiiiiEEv20rocsparse_operation_S1_20rocsparse_direction_T2_S3_NS_24const_host_device_scalarIT1_EES3_S3_PKS3_PKT3_PKT4_l16rocsparse_order_S6_PT5_lSF_21rocsparse_index_base_b, .Lfunc_end0-_ZN9rocsparseL30bellmm_general_blockdim_kernelILi32ELi32EiiiiiEEv20rocsparse_operation_S1_20rocsparse_direction_T2_S3_NS_24const_host_device_scalarIT1_EES3_S3_PKS3_PKT3_PKT4_l16rocsparse_order_S6_PT5_lSF_21rocsparse_index_base_b
                                        ; -- End function
	.section	.AMDGPU.csdata,"",@progbits
; Kernel info:
; codeLenInByte = 1988
; NumSgprs: 58
; NumVgprs: 63
; NumAgprs: 0
; TotalNumVgprs: 63
; ScratchSize: 0
; MemoryBound: 0
; FloatMode: 240
; IeeeMode: 1
; LDSByteSize: 8192 bytes/workgroup (compile time only)
; SGPRBlocks: 7
; VGPRBlocks: 7
; NumSGPRsForWavesPerEU: 58
; NumVGPRsForWavesPerEU: 63
; AccumOffset: 64
; Occupancy: 8
; WaveLimiterHint : 0
; COMPUTE_PGM_RSRC2:SCRATCH_EN: 0
; COMPUTE_PGM_RSRC2:USER_SGPR: 6
; COMPUTE_PGM_RSRC2:TRAP_HANDLER: 0
; COMPUTE_PGM_RSRC2:TGID_X_EN: 1
; COMPUTE_PGM_RSRC2:TGID_Y_EN: 1
; COMPUTE_PGM_RSRC2:TGID_Z_EN: 0
; COMPUTE_PGM_RSRC2:TIDIG_COMP_CNT: 1
; COMPUTE_PGM_RSRC3_GFX90A:ACCUM_OFFSET: 15
; COMPUTE_PGM_RSRC3_GFX90A:TG_SPLIT: 0
	.section	.text._ZN9rocsparseL30bellmm_general_blockdim_kernelILi32ELi32EiliiiEEv20rocsparse_operation_S1_20rocsparse_direction_T2_S3_NS_24const_host_device_scalarIT1_EES3_S3_PKS3_PKT3_PKT4_l16rocsparse_order_S6_PT5_lSF_21rocsparse_index_base_b,"axG",@progbits,_ZN9rocsparseL30bellmm_general_blockdim_kernelILi32ELi32EiliiiEEv20rocsparse_operation_S1_20rocsparse_direction_T2_S3_NS_24const_host_device_scalarIT1_EES3_S3_PKS3_PKT3_PKT4_l16rocsparse_order_S6_PT5_lSF_21rocsparse_index_base_b,comdat
	.globl	_ZN9rocsparseL30bellmm_general_blockdim_kernelILi32ELi32EiliiiEEv20rocsparse_operation_S1_20rocsparse_direction_T2_S3_NS_24const_host_device_scalarIT1_EES3_S3_PKS3_PKT3_PKT4_l16rocsparse_order_S6_PT5_lSF_21rocsparse_index_base_b ; -- Begin function _ZN9rocsparseL30bellmm_general_blockdim_kernelILi32ELi32EiliiiEEv20rocsparse_operation_S1_20rocsparse_direction_T2_S3_NS_24const_host_device_scalarIT1_EES3_S3_PKS3_PKT3_PKT4_l16rocsparse_order_S6_PT5_lSF_21rocsparse_index_base_b
	.p2align	8
	.type	_ZN9rocsparseL30bellmm_general_blockdim_kernelILi32ELi32EiliiiEEv20rocsparse_operation_S1_20rocsparse_direction_T2_S3_NS_24const_host_device_scalarIT1_EES3_S3_PKS3_PKT3_PKT4_l16rocsparse_order_S6_PT5_lSF_21rocsparse_index_base_b,@function
_ZN9rocsparseL30bellmm_general_blockdim_kernelILi32ELi32EiliiiEEv20rocsparse_operation_S1_20rocsparse_direction_T2_S3_NS_24const_host_device_scalarIT1_EES3_S3_PKS3_PKT3_PKT4_l16rocsparse_order_S6_PT5_lSF_21rocsparse_index_base_b: ; @_ZN9rocsparseL30bellmm_general_blockdim_kernelILi32ELi32EiliiiEEv20rocsparse_operation_S1_20rocsparse_direction_T2_S3_NS_24const_host_device_scalarIT1_EES3_S3_PKS3_PKT3_PKT4_l16rocsparse_order_S6_PT5_lSF_21rocsparse_index_base_b
; %bb.0:
	s_load_dwordx4 s[24:27], s[4:5], 0x78
	s_load_dwordx8 s[12:19], s[4:5], 0x10
	s_mov_b32 s0, s7
	s_mov_b64 s[10:11], -1
                                        ; implicit-def: $sgpr33
	s_waitcnt lgkmcnt(0)
	s_bitcmp1_b32 s26, 0
	s_cselect_b64 s[2:3], -1, 0
	s_xor_b64 s[8:9], s[2:3], -1
	s_and_b64 vcc, exec, s[8:9]
	s_cbranch_vccnz .LBB1_4
; %bb.1:
	s_load_dwordx2 s[2:3], s[4:5], 0x60
	s_andn2_b64 vcc, exec, s[10:11]
	s_cbranch_vccz .LBB1_5
.LBB1_2:
	s_and_b64 vcc, exec, s[8:9]
	s_cbranch_vccz .LBB1_6
.LBB1_3:
	s_waitcnt lgkmcnt(0)
	s_load_dword s60, s[2:3], 0x0
	s_cbranch_execz .LBB1_7
	s_branch .LBB1_8
.LBB1_4:
	s_load_dword s33, s[16:17], 0x0
	s_load_dwordx2 s[2:3], s[4:5], 0x60
	s_cbranch_execnz .LBB1_2
.LBB1_5:
	s_waitcnt lgkmcnt(0)
	s_mov_b32 s33, s16
	s_and_b64 vcc, exec, s[8:9]
	s_cbranch_vccnz .LBB1_3
.LBB1_6:
                                        ; implicit-def: $sgpr60
.LBB1_7:
	s_waitcnt lgkmcnt(0)
	s_mov_b32 s60, s2
.LBB1_8:
	s_waitcnt lgkmcnt(0)
	s_cmp_eq_u32 s33, 0
	s_cselect_b64 s[2:3], -1, 0
	s_cmp_eq_u32 s60, 1
	s_cselect_b64 s[8:9], -1, 0
	s_and_b64 s[2:3], s[2:3], s[8:9]
	s_mov_b32 s7, 0
	s_and_b64 vcc, exec, s[2:3]
	s_cbranch_vccnz .LBB1_49
; %bb.9:
	s_load_dwordx2 s[26:27], s[4:5], 0x30
	v_pk_mov_b32 v[2:3], s[12:13], s[12:13] op_sel:[0,1]
	v_cmp_ge_i64_e32 vcc, s[6:7], v[2:3]
	v_cmp_lt_i64_e64 s[2:3], s[6:7], v[2:3]
	s_mov_b64 s[28:29], 0
	s_cbranch_vccnz .LBB1_13
; %bb.10:
	s_waitcnt lgkmcnt(0)
	s_or_b64 s[8:9], s[18:19], s[26:27]
	s_mov_b32 s8, 0
	s_cmp_lg_u64 s[8:9], 0
	s_cbranch_scc0 .LBB1_50
; %bb.11:
	s_ashr_i32 s10, s27, 31
	s_add_u32 s8, s26, s10
	s_mov_b32 s11, s10
	s_addc_u32 s9, s27, s10
	s_xor_b64 s[20:21], s[8:9], s[10:11]
	v_cvt_f32_u32_e32 v1, s20
	v_cvt_f32_u32_e32 v2, s21
	s_sub_u32 s1, 0, s20
	s_subb_u32 s7, 0, s21
	v_madmk_f32 v1, v2, 0x4f800000, v1
	v_rcp_f32_e32 v1, v1
	v_mul_f32_e32 v1, 0x5f7ffffc, v1
	v_mul_f32_e32 v2, 0x2f800000, v1
	v_trunc_f32_e32 v2, v2
	v_madmk_f32 v1, v2, 0xcf800000, v1
	v_cvt_u32_f32_e32 v2, v2
	v_cvt_u32_f32_e32 v1, v1
	v_readfirstlane_b32 s8, v2
	v_readfirstlane_b32 s9, v1
	s_mul_i32 s22, s1, s8
	s_mul_hi_u32 s28, s1, s9
	s_mul_i32 s23, s7, s9
	s_add_i32 s22, s28, s22
	s_add_i32 s22, s22, s23
	s_mul_i32 s29, s1, s9
	s_mul_hi_u32 s23, s9, s22
	s_mul_i32 s28, s9, s22
	s_mul_hi_u32 s9, s9, s29
	s_add_u32 s9, s9, s28
	s_addc_u32 s23, 0, s23
	s_mul_hi_u32 s30, s8, s29
	s_mul_i32 s29, s8, s29
	s_add_u32 s9, s9, s29
	s_mul_hi_u32 s28, s8, s22
	s_addc_u32 s9, s23, s30
	s_addc_u32 s23, s28, 0
	s_mul_i32 s22, s8, s22
	s_add_u32 s9, s9, s22
	s_addc_u32 s22, 0, s23
	v_add_co_u32_e32 v1, vcc, s9, v1
	s_cmp_lg_u64 vcc, 0
	s_addc_u32 s8, s8, s22
	v_readfirstlane_b32 s22, v1
	s_mul_i32 s9, s1, s8
	s_mul_hi_u32 s23, s1, s22
	s_add_i32 s9, s23, s9
	s_mul_i32 s7, s7, s22
	s_add_i32 s9, s9, s7
	s_mul_i32 s1, s1, s22
	s_mul_hi_u32 s23, s8, s1
	s_mul_i32 s28, s8, s1
	s_mul_i32 s30, s22, s9
	s_mul_hi_u32 s1, s22, s1
	s_mul_hi_u32 s29, s22, s9
	s_add_u32 s1, s1, s30
	s_addc_u32 s22, 0, s29
	s_add_u32 s1, s1, s28
	s_mul_hi_u32 s7, s8, s9
	s_addc_u32 s1, s22, s23
	s_addc_u32 s7, s7, 0
	s_mul_i32 s9, s8, s9
	s_add_u32 s1, s1, s9
	s_addc_u32 s7, 0, s7
	v_add_co_u32_e32 v1, vcc, s1, v1
	s_cmp_lg_u64 vcc, 0
	s_addc_u32 s1, s8, s7
	s_ashr_i32 s22, s19, 31
	s_add_u32 s8, s18, s22
	s_mov_b32 s23, s22
	s_addc_u32 s9, s19, s22
	s_xor_b64 s[28:29], s[8:9], s[22:23]
	v_readfirstlane_b32 s9, v1
	s_mul_i32 s8, s28, s1
	s_mul_hi_u32 s19, s28, s9
	s_mul_hi_u32 s7, s28, s1
	s_add_u32 s8, s19, s8
	s_addc_u32 s7, 0, s7
	s_mul_hi_u32 s30, s29, s9
	s_mul_i32 s9, s29, s9
	s_add_u32 s8, s8, s9
	s_mul_hi_u32 s19, s29, s1
	s_addc_u32 s7, s7, s30
	s_addc_u32 s8, s19, 0
	s_mul_i32 s1, s29, s1
	s_add_u32 s1, s7, s1
	s_addc_u32 s7, 0, s8
	s_mul_i32 s8, s20, s7
	s_mul_hi_u32 s9, s20, s1
	s_add_i32 s8, s9, s8
	s_mul_i32 s9, s21, s1
	s_add_i32 s19, s8, s9
	s_mul_i32 s9, s20, s1
	v_mov_b32_e32 v1, s9
	s_sub_i32 s8, s29, s19
	v_sub_co_u32_e32 v1, vcc, s28, v1
	s_cmp_lg_u64 vcc, 0
	s_subb_u32 s28, s8, s21
	v_subrev_co_u32_e64 v2, s[8:9], s20, v1
	s_cmp_lg_u64 s[8:9], 0
	s_subb_u32 s8, s28, 0
	s_cmp_ge_u32 s8, s21
	v_readfirstlane_b32 s28, v2
	s_cselect_b32 s9, -1, 0
	s_cmp_ge_u32 s28, s20
	s_cselect_b32 s28, -1, 0
	s_cmp_eq_u32 s8, s21
	s_cselect_b32 s8, s28, s9
	s_add_u32 s9, s1, 1
	s_addc_u32 s28, s7, 0
	s_add_u32 s30, s1, 2
	s_addc_u32 s31, s7, 0
	s_cmp_lg_u32 s8, 0
	s_cselect_b32 s8, s30, s9
	s_cselect_b32 s9, s31, s28
	s_cmp_lg_u64 vcc, 0
	s_subb_u32 s19, s29, s19
	s_cmp_ge_u32 s19, s21
	v_readfirstlane_b32 s29, v1
	s_cselect_b32 s28, -1, 0
	s_cmp_ge_u32 s29, s20
	s_cselect_b32 s20, -1, 0
	s_cmp_eq_u32 s19, s21
	s_cselect_b32 s19, s20, s28
	s_cmp_lg_u32 s19, 0
	s_cselect_b32 s9, s9, s7
	s_cselect_b32 s8, s8, s1
	s_xor_b64 s[10:11], s[22:23], s[10:11]
	s_xor_b64 s[8:9], s[8:9], s[10:11]
	s_sub_u32 s28, s8, s10
	s_subb_u32 s29, s9, s11
	s_cbranch_execnz .LBB1_13
.LBB1_12:
	v_cvt_f32_u32_e32 v1, s26
	s_sub_i32 s1, 0, s26
	s_mov_b32 s29, 0
	v_rcp_iflag_f32_e32 v1, v1
	v_mul_f32_e32 v1, 0x4f7ffffe, v1
	v_cvt_u32_f32_e32 v1, v1
	v_readfirstlane_b32 s7, v1
	s_mul_i32 s1, s1, s7
	s_mul_hi_u32 s1, s7, s1
	s_add_i32 s7, s7, s1
	s_mul_hi_u32 s1, s18, s7
	s_mul_i32 s8, s1, s26
	s_sub_i32 s8, s18, s8
	s_add_i32 s7, s1, 1
	s_sub_i32 s9, s8, s26
	s_cmp_ge_u32 s8, s26
	s_cselect_b32 s1, s7, s1
	s_cselect_b32 s8, s9, s8
	s_add_i32 s7, s1, 1
	s_cmp_ge_u32 s8, s26
	s_cselect_b32 s28, s7, s1
.LBB1_13:
	s_waitcnt lgkmcnt(0)
	v_cmp_lt_i64_e64 s[8:9], s[26:27], 1
	s_and_b64 vcc, exec, s[8:9]
	s_cbranch_vccnz .LBB1_49
; %bb.14:
	v_bfe_u32 v2, v0, 10, 10
	s_lshl_b32 s0, s0, 5
	v_add_co_u32_e32 v4, vcc, s0, v2
	v_addc_co_u32_e64 v5, s[0:1], 0, 0, vcc
	s_load_dwordx2 s[34:35], s[4:5], 0x4
	s_load_dwordx4 s[8:11], s[4:5], 0x68
	s_load_dword s36, s[4:5], 0x58
	s_mul_i32 s0, s6, s27
	s_mul_hi_u32 s1, s6, s26
	s_load_dwordx8 s[16:23], s[4:5], 0x38
	s_add_i32 s5, s1, s0
	s_mul_i32 s0, s26, s27
	s_mul_hi_u32 s1, s26, s26
	s_add_i32 s1, s1, s0
	s_add_i32 s7, s1, s0
	s_waitcnt lgkmcnt(0)
	s_cmpk_eq_i32 s34, 0x6f
	s_cselect_b64 s[38:39], -1, 0
	s_cmp_lg_u32 s36, 1
	v_lshlrev_b64 v[6:7], 2, v[4:5]
	v_and_b32_e32 v0, 0x3ff, v0
	s_cselect_b64 s[40:41], -1, 0
	v_mov_b32_e32 v10, s21
	v_add_co_u32_e32 v1, vcc, s20, v6
	v_lshlrev_b32_e32 v6, 5, v2
	s_cmp_lg_u32 s35, 0
	v_cmp_gt_i64_e64 s[0:1], s[14:15], v[4:5]
	v_addc_co_u32_e32 v3, vcc, v10, v7, vcc
	v_add_lshl_u32 v24, v6, v0, 2
	s_cselect_b64 s[14:15], -1, 0
	s_cmp_lg_u32 s24, 1
	v_mad_u64_u32 v[6:7], s[34:35], v4, s10, 0
	s_mov_b32 s62, s25
	s_cselect_b64 s[24:25], -1, 0
	s_and_b64 s[34:35], s[2:3], s[0:1]
	v_mul_lo_u32 v8, v5, s10
	v_mul_lo_u32 v9, v4, s11
	s_cmp_lg_u32 s60, 0
	v_add3_u32 v7, v7, v9, v8
	s_cselect_b64 s[36:37], -1, 0
	s_xor_b64 s[2:3], s[38:39], s[40:41]
	v_mov_b32_e32 v8, 0x1000
	s_xor_b64 s[38:39], s[2:3], -1
	v_lshl_add_u32 v27, v2, 7, v8
	v_mul_lo_u32 v12, s23, v4
	v_mul_lo_u32 v13, s22, v5
	v_mad_u64_u32 v[8:9], s[2:3], s22, v4, 0
	v_add3_u32 v9, v9, v13, v12
	v_lshlrev_b32_e32 v26, 2, v0
	v_lshlrev_b64 v[8:9], 2, v[8:9]
	v_add_co_u32_e32 v8, vcc, v8, v26
	v_addc_co_u32_e32 v9, vcc, 0, v9, vcc
	s_mul_i32 s4, s6, s26
	v_add_co_u32_e32 v8, vcc, s20, v8
	v_addc_co_u32_e32 v9, vcc, v10, v9, vcc
	s_lshl_b64 s[2:3], s[4:5], 2
	v_mov_b32_e32 v10, s3
	v_add_co_u32_e32 v12, vcc, s2, v26
	v_mov_b32_e32 v11, 0
	v_addc_co_u32_e32 v13, vcc, 0, v10, vcc
	v_lshlrev_b32_e32 v10, 2, v2
	s_mul_i32 s61, s26, s26
	v_mad_u64_u32 v[10:11], s[2:3], s26, v12, v[10:11]
	s_mul_i32 s2, s61, s13
	s_mul_hi_u32 s3, s61, s12
	v_mul_lo_u32 v13, s26, v13
	v_mul_lo_u32 v14, s27, v12
	s_add_i32 s2, s3, s2
	s_mul_i32 s3, s7, s12
	v_add3_u32 v11, v14, v11, v13
	v_mov_b32_e32 v12, s19
	v_add_co_u32_e32 v10, vcc, s18, v10
	s_add_i32 s3, s2, s3
	s_mul_i32 s2, s61, s12
	s_mov_b64 s[30:31], 0
	v_add_u32_e32 v25, 0x1000, v24
	s_lshl_b64 s[20:21], s[26:27], 2
	v_addc_co_u32_e32 v11, vcc, v12, v11, vcc
	s_lshl_b64 s[40:41], s[26:27], 7
	s_lshl_b64 s[42:43], s[2:3], 2
	v_cmp_gt_i64_e64 s[44:45], s[28:29], 0
	s_branch .LBB1_16
.LBB1_15:                               ;   in Loop: Header=BB1_16 Depth=1
	s_or_b64 exec, exec, s[2:3]
	s_add_u32 s30, s30, 32
	v_mov_b32_e32 v12, s41
	v_add_co_u32_e32 v10, vcc, s40, v10
	s_addc_u32 s31, s31, 0
	v_addc_co_u32_e32 v11, vcc, v11, v12, vcc
	v_pk_mov_b32 v[12:13], s[26:27], s[26:27] op_sel:[0,1]
	v_cmp_lt_i64_e32 vcc, s[30:31], v[12:13]
	s_cbranch_vccz .LBB1_49
.LBB1_16:                               ; =>This Loop Header: Depth=1
                                        ;     Child Loop BB1_19 Depth 2
                                        ;       Child Loop BB1_21 Depth 3
	v_mov_b32_e32 v13, s31
	v_add_co_u32_e32 v12, vcc, s30, v0
	v_addc_co_u32_e32 v13, vcc, 0, v13, vcc
	s_andn2_b64 vcc, exec, s[44:45]
	v_cmp_gt_i64_e64 s[2:3], s[26:27], v[12:13]
	s_cbranch_vccnz .LBB1_39
; %bb.17:                               ;   in Loop: Header=BB1_16 Depth=1
	v_lshlrev_b64 v[14:15], 2, v[12:13]
	v_mov_b32_e32 v16, s19
	v_add_co_u32_e32 v29, vcc, s18, v14
	v_addc_co_u32_e32 v30, vcc, v16, v15, vcc
	s_mov_b64 s[46:47], 0
	v_mov_b32_e32 v28, 0
	v_pk_mov_b32 v[14:15], v[10:11], v[10:11] op_sel:[0,1]
	s_branch .LBB1_19
.LBB1_18:                               ;   in Loop: Header=BB1_19 Depth=2
	s_add_u32 s46, s46, 1
	s_addc_u32 s47, s47, 0
	v_mov_b32_e32 v16, s43
	v_add_co_u32_e32 v14, vcc, s42, v14
	s_cmp_eq_u64 s[46:47], s[28:29]
	v_addc_co_u32_e32 v15, vcc, v15, v16, vcc
	s_cbranch_scc1 .LBB1_40
.LBB1_19:                               ;   Parent Loop BB1_16 Depth=1
                                        ; =>  This Loop Header: Depth=2
                                        ;       Child Loop BB1_21 Depth 3
	s_mul_i32 s48, s46, s13
	s_mul_hi_u32 s49, s46, s12
	s_add_i32 s48, s49, s48
	s_mul_i32 s49, s47, s12
	s_add_i32 s49, s48, s49
	s_mul_i32 s48, s46, s12
	s_add_u32 s48, s48, s6
	s_addc_u32 s49, s49, 0
	s_mul_i32 s50, s61, s49
	s_mul_hi_u32 s51, s61, s48
	s_add_i32 s50, s51, s50
	s_mul_i32 s51, s7, s48
	s_add_i32 s51, s50, s51
	s_lshl_b64 s[52:53], s[48:49], 3
	s_add_u32 s52, s16, s52
	s_addc_u32 s53, s17, s53
	s_load_dwordx2 s[52:53], s[52:53], 0x0
	s_mul_i32 s50, s61, s48
	v_pk_mov_b32 v[18:19], v[14:15], v[14:15] op_sel:[0,1]
	s_waitcnt lgkmcnt(0)
	s_sub_u32 s52, s52, s62
	s_subb_u32 s53, s53, 0
	s_lshl_b64 s[50:51], s[50:51], 2
	v_mov_b32_e32 v16, s51
	v_add_co_u32_e32 v31, vcc, s50, v29
	s_mul_i32 s54, s52, s27
	s_mul_hi_u32 s55, s52, s26
	v_addc_co_u32_e32 v32, vcc, v30, v16, vcc
	s_mul_i32 s50, s21, s52
	s_mul_i32 s51, s20, s53
	v_mov_b32_e32 v16, s52
	v_cmp_gt_i64_e64 s[48:49], s[52:53], -1
	s_add_i32 s54, s55, s54
	s_mul_i32 s55, s53, s26
	s_add_i32 s53, s51, s50
	v_mad_u64_u32 v[16:17], s[50:51], s20, v16, v[8:9]
	s_add_i32 s63, s54, s55
	s_mul_i32 s64, s52, s26
	v_add_u32_e32 v17, s53, v17
	s_mov_b64 s[50:51], 0
	s_branch .LBB1_21
.LBB1_20:                               ;   in Loop: Header=BB1_21 Depth=3
	v_add_co_u32_e32 v16, vcc, 0x80, v16
	v_addc_co_u32_e32 v17, vcc, 0, v17, vcc
	s_add_u32 s50, s50, 32
	v_add_co_u32_e32 v18, vcc, 0x80, v18
	s_addc_u32 s51, s51, 0
	v_addc_co_u32_e32 v19, vcc, 0, v19, vcc
	v_pk_mov_b32 v[20:21], s[26:27], s[26:27] op_sel:[0,1]
	v_cmp_ge_i64_e32 vcc, s[50:51], v[20:21]
	s_barrier
	s_cbranch_vccnz .LBB1_18
.LBB1_21:                               ;   Parent Loop BB1_16 Depth=1
                                        ;     Parent Loop BB1_19 Depth=2
                                        ; =>    This Inner Loop Header: Depth=3
	v_mov_b32_e32 v20, s51
	v_add_co_u32_e32 v22, vcc, s50, v0
	v_addc_co_u32_e32 v23, vcc, 0, v20, vcc
	v_cmp_gt_i64_e32 vcc, s[26:27], v[22:23]
	s_and_b64 s[52:53], s[0:1], vcc
	s_and_b64 s[54:55], s[52:53], s[48:49]
	s_and_b64 vcc, exec, s[38:39]
	s_cbranch_vccz .LBB1_25
; %bb.22:                               ;   in Loop: Header=BB1_21 Depth=3
	s_mov_b64 s[56:57], 0
	s_mov_b64 s[52:53], 0
                                        ; implicit-def: $vgpr20_vgpr21
	s_and_saveexec_b64 s[58:59], s[54:55]
	s_xor_b64 s[58:59], exec, s[58:59]
; %bb.23:                               ;   in Loop: Header=BB1_21 Depth=3
	v_mov_b32_e32 v20, s63
	v_add_co_u32_e32 v21, vcc, s64, v22
	v_addc_co_u32_e32 v20, vcc, v23, v20, vcc
	v_mul_lo_u32 v22, v20, s22
	v_mul_lo_u32 v23, v21, s23
	v_mad_u64_u32 v[20:21], s[66:67], v21, s22, 0
	v_add3_u32 v21, v21, v23, v22
	v_lshlrev_b64 v[20:21], 2, v[20:21]
	v_add_co_u32_e32 v20, vcc, v1, v20
	s_mov_b64 s[52:53], exec
	v_addc_co_u32_e32 v21, vcc, v3, v21, vcc
; %bb.24:                               ;   in Loop: Header=BB1_21 Depth=3
	s_or_b64 exec, exec, s[58:59]
	s_mov_b32 s58, 0
	s_and_b64 vcc, exec, s[56:57]
	s_cbranch_vccnz .LBB1_26
	s_branch .LBB1_27
.LBB1_25:                               ;   in Loop: Header=BB1_21 Depth=3
	s_mov_b64 s[52:53], 0
                                        ; implicit-def: $vgpr20_vgpr21
                                        ; implicit-def: $sgpr58
	s_cbranch_execz .LBB1_27
.LBB1_26:                               ;   in Loop: Header=BB1_21 Depth=3
	s_andn2_b64 s[52:53], s[52:53], exec
	s_and_b64 s[54:55], s[54:55], exec
	s_mov_b32 s58, 0
	s_or_b64 s[52:53], s[52:53], s[54:55]
	v_pk_mov_b32 v[20:21], v[16:17], v[16:17] op_sel:[0,1]
.LBB1_27:                               ;   in Loop: Header=BB1_21 Depth=3
	v_mov_b32_e32 v33, s58
	s_and_saveexec_b64 s[54:55], s[52:53]
	s_cbranch_execz .LBB1_29
; %bb.28:                               ;   in Loop: Header=BB1_21 Depth=3
	global_load_dword v33, v[20:21], off
.LBB1_29:                               ;   in Loop: Header=BB1_21 Depth=3
	s_or_b64 exec, exec, s[54:55]
	v_mov_b32_e32 v20, s51
	v_add_co_u32_e32 v22, vcc, s50, v2
	v_addc_co_u32_e32 v23, vcc, 0, v20, vcc
	v_cmp_gt_i64_e32 vcc, s[26:27], v[22:23]
	s_and_b64 s[52:53], s[2:3], vcc
	s_and_b64 s[54:55], s[52:53], s[48:49]
	s_and_b64 vcc, exec, s[14:15]
	s_waitcnt vmcnt(0)
	ds_write_b32 v25, v33
	s_cbranch_vccz .LBB1_38
; %bb.30:                               ;   in Loop: Header=BB1_21 Depth=3
	s_mov_b64 s[56:57], 0
	s_mov_b64 s[52:53], 0
                                        ; implicit-def: $vgpr20_vgpr21
	s_and_saveexec_b64 s[58:59], s[54:55]
	s_xor_b64 s[58:59], exec, s[58:59]
; %bb.31:                               ;   in Loop: Header=BB1_21 Depth=3
	v_mul_lo_u32 v23, v23, s26
	v_mul_lo_u32 v33, v22, s27
	v_mad_u64_u32 v[20:21], s[66:67], v22, s26, 0
	v_add3_u32 v21, v21, v33, v23
	v_lshlrev_b64 v[20:21], 2, v[20:21]
	v_add_co_u32_e32 v20, vcc, v31, v20
	s_mov_b64 s[52:53], exec
	v_addc_co_u32_e32 v21, vcc, v32, v21, vcc
; %bb.32:                               ;   in Loop: Header=BB1_21 Depth=3
	s_or_b64 exec, exec, s[58:59]
	s_mov_b32 s58, 0
	s_and_b64 vcc, exec, s[56:57]
	s_cbranch_vccz .LBB1_34
.LBB1_33:                               ;   in Loop: Header=BB1_21 Depth=3
	s_andn2_b64 s[52:53], s[52:53], exec
	s_and_b64 s[54:55], s[54:55], exec
	s_mov_b32 s58, 0
	s_or_b64 s[52:53], s[52:53], s[54:55]
	v_pk_mov_b32 v[20:21], v[18:19], v[18:19] op_sel:[0,1]
.LBB1_34:                               ;   in Loop: Header=BB1_21 Depth=3
	v_mov_b32_e32 v22, s58
	s_and_saveexec_b64 s[54:55], s[52:53]
	s_cbranch_execz .LBB1_36
; %bb.35:                               ;   in Loop: Header=BB1_21 Depth=3
	global_load_dword v22, v[20:21], off
.LBB1_36:                               ;   in Loop: Header=BB1_21 Depth=3
	s_or_b64 exec, exec, s[54:55]
	s_andn2_b64 vcc, exec, s[48:49]
	s_waitcnt vmcnt(0)
	ds_write_b32 v24, v22
	s_waitcnt lgkmcnt(0)
	s_barrier
	s_cbranch_vccnz .LBB1_20
; %bb.37:                               ;   in Loop: Header=BB1_21 Depth=3
	ds_read2_b32 v[46:47], v26 offset1:32
	ds_read2_b32 v[48:49], v26 offset0:64 offset1:96
	ds_read_b128 v[20:23], v27
	ds_read_b128 v[34:37], v27 offset:16
	ds_read_b128 v[38:41], v27 offset:32
	;; [unrolled: 1-line block ×3, first 2 shown]
	ds_read2_b32 v[50:51], v26 offset0:192 offset1:224
	s_waitcnt lgkmcnt(4)
	v_mul_lo_u32 v33, v22, v48
	v_mul_lo_u32 v60, v20, v46
	;; [unrolled: 1-line block ×3, first 2 shown]
	ds_read2_b32 v[48:49], v26 offset0:128 offset1:160
	v_add_u32_e32 v46, 0x400, v26
	s_waitcnt lgkmcnt(1)
	v_mul_lo_u32 v62, v36, v50
	ds_read2_b32 v[22:23], v46 offset0:64 offset1:96
	ds_read2_b32 v[52:53], v46 offset1:32
	v_mad_u64_u32 v[56:57], s[52:53], v21, v47, v[20:21]
	s_waitcnt lgkmcnt(2)
	v_mul_lo_u32 v63, v34, v48
	v_mul_lo_u32 v34, v37, v51
	ds_read2_b32 v[36:37], v46 offset0:192 offset1:224
	ds_read2_b32 v[50:51], v46 offset0:128 offset1:160
	s_waitcnt lgkmcnt(3)
	v_mul_lo_u32 v64, v40, v22
	s_waitcnt lgkmcnt(2)
	v_mul_lo_u32 v65, v38, v52
	v_mul_lo_u32 v38, v41, v23
	s_waitcnt lgkmcnt(1)
	v_mul_lo_u32 v66, v44, v36
	v_add_u32_e32 v36, 0x800, v26
	ds_read2_b32 v[40:41], v36 offset0:64 offset1:96
	s_waitcnt lgkmcnt(1)
	v_mul_lo_u32 v67, v42, v50
	v_mul_lo_u32 v42, v45, v37
	ds_read2_b32 v[54:55], v36 offset1:32
	ds_read_b128 v[20:23], v27 offset:64
	ds_read_b128 v[44:47], v27 offset:80
	ds_read2_b32 v[58:59], v36 offset0:128 offset1:160
	ds_read2_b32 v[36:37], v36 offset0:192 offset1:224
	v_mad_u64_u32 v[48:49], s[52:53], v35, v49, v[34:35]
	s_waitcnt lgkmcnt(3)
	v_mul_lo_u32 v49, v22, v40
	s_waitcnt lgkmcnt(1)
	v_mul_lo_u32 v44, v44, v58
	v_add_u32_e32 v58, 0xc00, v26
	v_mul_lo_u32 v54, v20, v54
	v_mul_lo_u32 v20, v23, v41
	s_waitcnt lgkmcnt(0)
	v_mul_lo_u32 v23, v46, v36
	v_mul_lo_u32 v22, v47, v37
	v_mad_u64_u32 v[46:47], s[52:53], v39, v53, v[38:39]
	ds_read2_b32 v[52:53], v58 offset0:64 offset1:96
	ds_read_b128 v[34:37], v27 offset:96
	v_mad_u64_u32 v[42:43], s[52:53], v43, v51, v[42:43]
	ds_read2_b32 v[50:51], v58 offset1:32
	ds_read_b128 v[38:41], v27 offset:112
	v_add3_u32 v33, v60, v33, v56
	ds_read2_b32 v[56:57], v58 offset0:192 offset1:224
	ds_read2_b32 v[60:61], v58 offset0:128 offset1:160
	v_add3_u32 v47, v63, v62, v48
	s_waitcnt lgkmcnt(3)
	v_mul_lo_u32 v48, v34, v50
	v_mul_lo_u32 v34, v37, v53
	s_waitcnt lgkmcnt(1)
	v_mul_lo_u32 v37, v40, v56
	v_add3_u32 v40, v65, v64, v46
	v_mad_u64_u32 v[20:21], s[52:53], v21, v55, v[20:21]
	v_add3_u32 v33, v33, v47, v40
	v_add3_u32 v40, v67, v66, v42
	;; [unrolled: 1-line block ×4, first 2 shown]
	v_mad_u64_u32 v[20:21], s[52:53], v45, v59, v[22:23]
	v_mul_lo_u32 v43, v36, v52
	v_add3_u32 v22, v44, v23, v20
	v_mad_u64_u32 v[20:21], s[52:53], v35, v51, v[34:35]
	v_mul_lo_u32 v36, v41, v57
	v_add3_u32 v20, v48, v43, v20
	s_waitcnt lgkmcnt(0)
	v_mul_lo_u32 v38, v38, v60
	v_add3_u32 v22, v33, v22, v20
	v_mad_u64_u32 v[20:21], s[52:53], v39, v61, v[36:37]
	v_add3_u32 v20, v38, v37, v20
	v_add3_u32 v28, v22, v20, v28
	s_branch .LBB1_20
.LBB1_38:                               ;   in Loop: Header=BB1_21 Depth=3
	s_mov_b64 s[52:53], 0
                                        ; implicit-def: $vgpr20_vgpr21
                                        ; implicit-def: $sgpr58
	s_cbranch_execnz .LBB1_33
	s_branch .LBB1_34
.LBB1_39:                               ;   in Loop: Header=BB1_16 Depth=1
	v_mov_b32_e32 v28, 0
.LBB1_40:                               ;   in Loop: Header=BB1_16 Depth=1
	v_mov_b32_e32 v14, s5
	v_add_co_u32_e32 v16, vcc, s4, v12
	v_addc_co_u32_e32 v17, vcc, v13, v14, vcc
	s_and_b64 vcc, exec, s[24:25]
	s_cbranch_vccz .LBB1_42
; %bb.41:                               ;   in Loop: Header=BB1_16 Depth=1
	v_mad_u64_u32 v[14:15], s[2:3], v16, s10, v[4:5]
	v_mul_lo_u32 v18, v16, s11
	v_mul_lo_u32 v19, v17, s10
	v_add3_u32 v15, v19, v15, v18
	s_cbranch_execz .LBB1_43
	s_branch .LBB1_44
.LBB1_42:                               ;   in Loop: Header=BB1_16 Depth=1
                                        ; implicit-def: $vgpr14_vgpr15
.LBB1_43:                               ;   in Loop: Header=BB1_16 Depth=1
	v_add_co_u32_e32 v14, vcc, v16, v6
	v_addc_co_u32_e32 v15, vcc, v17, v7, vcc
.LBB1_44:                               ;   in Loop: Header=BB1_16 Depth=1
	v_cmp_gt_i64_e32 vcc, s[26:27], v[12:13]
	s_and_b64 s[46:47], s[34:35], vcc
	s_and_saveexec_b64 s[2:3], s[46:47]
	s_cbranch_execz .LBB1_15
; %bb.45:                               ;   in Loop: Header=BB1_16 Depth=1
	s_and_b64 vcc, exec, s[36:37]
	v_lshlrev_b64 v[14:15], 2, v[14:15]
	v_mul_lo_u32 v12, v28, s33
	s_cbranch_vccz .LBB1_47
; %bb.46:                               ;   in Loop: Header=BB1_16 Depth=1
	v_mov_b32_e32 v13, s9
	v_add_co_u32_e32 v16, vcc, s8, v14
	v_addc_co_u32_e32 v17, vcc, v13, v15, vcc
	global_load_dword v13, v[16:17], off
	s_waitcnt vmcnt(0)
	v_mad_u64_u32 v[18:19], s[46:47], v13, s60, v[12:13]
	global_store_dword v[16:17], v18, off
	s_cbranch_execnz .LBB1_15
	s_branch .LBB1_48
.LBB1_47:                               ;   in Loop: Header=BB1_16 Depth=1
.LBB1_48:                               ;   in Loop: Header=BB1_16 Depth=1
	v_mov_b32_e32 v13, s9
	v_add_co_u32_e32 v14, vcc, s8, v14
	v_addc_co_u32_e32 v15, vcc, v13, v15, vcc
	global_store_dword v[14:15], v12, off
	s_branch .LBB1_15
.LBB1_49:
	s_endpgm
.LBB1_50:
                                        ; implicit-def: $sgpr28_sgpr29
	s_branch .LBB1_12
	.section	.rodata,"a",@progbits
	.p2align	6, 0x0
	.amdhsa_kernel _ZN9rocsparseL30bellmm_general_blockdim_kernelILi32ELi32EiliiiEEv20rocsparse_operation_S1_20rocsparse_direction_T2_S3_NS_24const_host_device_scalarIT1_EES3_S3_PKS3_PKT3_PKT4_l16rocsparse_order_S6_PT5_lSF_21rocsparse_index_base_b
		.amdhsa_group_segment_fixed_size 8192
		.amdhsa_private_segment_fixed_size 0
		.amdhsa_kernarg_size 132
		.amdhsa_user_sgpr_count 6
		.amdhsa_user_sgpr_private_segment_buffer 1
		.amdhsa_user_sgpr_dispatch_ptr 0
		.amdhsa_user_sgpr_queue_ptr 0
		.amdhsa_user_sgpr_kernarg_segment_ptr 1
		.amdhsa_user_sgpr_dispatch_id 0
		.amdhsa_user_sgpr_flat_scratch_init 0
		.amdhsa_user_sgpr_kernarg_preload_length 0
		.amdhsa_user_sgpr_kernarg_preload_offset 0
		.amdhsa_user_sgpr_private_segment_size 0
		.amdhsa_uses_dynamic_stack 0
		.amdhsa_system_sgpr_private_segment_wavefront_offset 0
		.amdhsa_system_sgpr_workgroup_id_x 1
		.amdhsa_system_sgpr_workgroup_id_y 1
		.amdhsa_system_sgpr_workgroup_id_z 0
		.amdhsa_system_sgpr_workgroup_info 0
		.amdhsa_system_vgpr_workitem_id 1
		.amdhsa_next_free_vgpr 68
		.amdhsa_next_free_sgpr 68
		.amdhsa_accum_offset 68
		.amdhsa_reserve_vcc 1
		.amdhsa_reserve_flat_scratch 0
		.amdhsa_float_round_mode_32 0
		.amdhsa_float_round_mode_16_64 0
		.amdhsa_float_denorm_mode_32 3
		.amdhsa_float_denorm_mode_16_64 3
		.amdhsa_dx10_clamp 1
		.amdhsa_ieee_mode 1
		.amdhsa_fp16_overflow 0
		.amdhsa_tg_split 0
		.amdhsa_exception_fp_ieee_invalid_op 0
		.amdhsa_exception_fp_denorm_src 0
		.amdhsa_exception_fp_ieee_div_zero 0
		.amdhsa_exception_fp_ieee_overflow 0
		.amdhsa_exception_fp_ieee_underflow 0
		.amdhsa_exception_fp_ieee_inexact 0
		.amdhsa_exception_int_div_zero 0
	.end_amdhsa_kernel
	.section	.text._ZN9rocsparseL30bellmm_general_blockdim_kernelILi32ELi32EiliiiEEv20rocsparse_operation_S1_20rocsparse_direction_T2_S3_NS_24const_host_device_scalarIT1_EES3_S3_PKS3_PKT3_PKT4_l16rocsparse_order_S6_PT5_lSF_21rocsparse_index_base_b,"axG",@progbits,_ZN9rocsparseL30bellmm_general_blockdim_kernelILi32ELi32EiliiiEEv20rocsparse_operation_S1_20rocsparse_direction_T2_S3_NS_24const_host_device_scalarIT1_EES3_S3_PKS3_PKT3_PKT4_l16rocsparse_order_S6_PT5_lSF_21rocsparse_index_base_b,comdat
.Lfunc_end1:
	.size	_ZN9rocsparseL30bellmm_general_blockdim_kernelILi32ELi32EiliiiEEv20rocsparse_operation_S1_20rocsparse_direction_T2_S3_NS_24const_host_device_scalarIT1_EES3_S3_PKS3_PKT3_PKT4_l16rocsparse_order_S6_PT5_lSF_21rocsparse_index_base_b, .Lfunc_end1-_ZN9rocsparseL30bellmm_general_blockdim_kernelILi32ELi32EiliiiEEv20rocsparse_operation_S1_20rocsparse_direction_T2_S3_NS_24const_host_device_scalarIT1_EES3_S3_PKS3_PKT3_PKT4_l16rocsparse_order_S6_PT5_lSF_21rocsparse_index_base_b
                                        ; -- End function
	.section	.AMDGPU.csdata,"",@progbits
; Kernel info:
; codeLenInByte = 2912
; NumSgprs: 72
; NumVgprs: 68
; NumAgprs: 0
; TotalNumVgprs: 68
; ScratchSize: 0
; MemoryBound: 0
; FloatMode: 240
; IeeeMode: 1
; LDSByteSize: 8192 bytes/workgroup (compile time only)
; SGPRBlocks: 8
; VGPRBlocks: 8
; NumSGPRsForWavesPerEU: 72
; NumVGPRsForWavesPerEU: 68
; AccumOffset: 68
; Occupancy: 7
; WaveLimiterHint : 1
; COMPUTE_PGM_RSRC2:SCRATCH_EN: 0
; COMPUTE_PGM_RSRC2:USER_SGPR: 6
; COMPUTE_PGM_RSRC2:TRAP_HANDLER: 0
; COMPUTE_PGM_RSRC2:TGID_X_EN: 1
; COMPUTE_PGM_RSRC2:TGID_Y_EN: 1
; COMPUTE_PGM_RSRC2:TGID_Z_EN: 0
; COMPUTE_PGM_RSRC2:TIDIG_COMP_CNT: 1
; COMPUTE_PGM_RSRC3_GFX90A:ACCUM_OFFSET: 16
; COMPUTE_PGM_RSRC3_GFX90A:TG_SPLIT: 0
	.section	.text._ZN9rocsparseL30bellmm_general_blockdim_kernelILi32ELi32EfifffEEv20rocsparse_operation_S1_20rocsparse_direction_T2_S3_NS_24const_host_device_scalarIT1_EES3_S3_PKS3_PKT3_PKT4_l16rocsparse_order_S6_PT5_lSF_21rocsparse_index_base_b,"axG",@progbits,_ZN9rocsparseL30bellmm_general_blockdim_kernelILi32ELi32EfifffEEv20rocsparse_operation_S1_20rocsparse_direction_T2_S3_NS_24const_host_device_scalarIT1_EES3_S3_PKS3_PKT3_PKT4_l16rocsparse_order_S6_PT5_lSF_21rocsparse_index_base_b,comdat
	.globl	_ZN9rocsparseL30bellmm_general_blockdim_kernelILi32ELi32EfifffEEv20rocsparse_operation_S1_20rocsparse_direction_T2_S3_NS_24const_host_device_scalarIT1_EES3_S3_PKS3_PKT3_PKT4_l16rocsparse_order_S6_PT5_lSF_21rocsparse_index_base_b ; -- Begin function _ZN9rocsparseL30bellmm_general_blockdim_kernelILi32ELi32EfifffEEv20rocsparse_operation_S1_20rocsparse_direction_T2_S3_NS_24const_host_device_scalarIT1_EES3_S3_PKS3_PKT3_PKT4_l16rocsparse_order_S6_PT5_lSF_21rocsparse_index_base_b
	.p2align	8
	.type	_ZN9rocsparseL30bellmm_general_blockdim_kernelILi32ELi32EfifffEEv20rocsparse_operation_S1_20rocsparse_direction_T2_S3_NS_24const_host_device_scalarIT1_EES3_S3_PKS3_PKT3_PKT4_l16rocsparse_order_S6_PT5_lSF_21rocsparse_index_base_b,@function
_ZN9rocsparseL30bellmm_general_blockdim_kernelILi32ELi32EfifffEEv20rocsparse_operation_S1_20rocsparse_direction_T2_S3_NS_24const_host_device_scalarIT1_EES3_S3_PKS3_PKT3_PKT4_l16rocsparse_order_S6_PT5_lSF_21rocsparse_index_base_b: ; @_ZN9rocsparseL30bellmm_general_blockdim_kernelILi32ELi32EfifffEEv20rocsparse_operation_S1_20rocsparse_direction_T2_S3_NS_24const_host_device_scalarIT1_EES3_S3_PKS3_PKT3_PKT4_l16rocsparse_order_S6_PT5_lSF_21rocsparse_index_base_b
; %bb.0:
	s_load_dwordx4 s[16:19], s[4:5], 0x68
	s_load_dwordx2 s[28:29], s[4:5], 0x18
	s_load_dwordx2 s[30:31], s[4:5], 0x50
	s_waitcnt lgkmcnt(0)
	s_bitcmp1_b32 s18, 0
	s_cselect_b64 s[2:3], -1, 0
	s_xor_b64 s[0:1], s[2:3], -1
	s_and_b64 vcc, exec, s[2:3]
	s_cbranch_vccnz .LBB2_2
; %bb.1:
	s_load_dword s28, s[28:29], 0x0
.LBB2_2:
	s_andn2_b64 vcc, exec, s[0:1]
	s_cbranch_vccnz .LBB2_4
; %bb.3:
	s_load_dword s30, s[30:31], 0x0
.LBB2_4:
	s_waitcnt lgkmcnt(0)
	v_cmp_eq_f32_e64 s[0:1], s28, 0
	v_cmp_eq_f32_e64 s[2:3], s30, 1.0
	s_and_b64 s[0:1], s[0:1], s[2:3]
	s_mov_b32 s29, 0
	s_and_b64 vcc, exec, s[0:1]
	s_cbranch_vccnz .LBB2_46
; %bb.5:
	s_load_dwordx4 s[20:23], s[4:5], 0x4
	s_load_dwordx2 s[18:19], s[4:5], 0x20
	s_waitcnt lgkmcnt(0)
	s_cmp_lt_i32 s6, s22
	s_cselect_b64 s[2:3], -1, 0
	s_cmp_ge_i32 s6, s22
	s_cbranch_scc1 .LBB2_7
; %bb.6:
	s_abs_i32 s0, s19
	v_cvt_f32_u32_e32 v1, s0
	s_sub_i32 s9, 0, s0
	s_abs_i32 s8, s18
	s_xor_b32 s1, s18, s19
	v_rcp_iflag_f32_e32 v1, v1
	s_ashr_i32 s1, s1, 31
	v_mul_f32_e32 v1, 0x4f7ffffe, v1
	v_cvt_u32_f32_e32 v1, v1
	v_readfirstlane_b32 s10, v1
	s_mul_i32 s9, s9, s10
	s_mul_hi_u32 s9, s10, s9
	s_add_i32 s10, s10, s9
	s_mul_hi_u32 s9, s8, s10
	s_mul_i32 s10, s9, s0
	s_sub_i32 s8, s8, s10
	s_add_i32 s11, s9, 1
	s_sub_i32 s10, s8, s0
	s_cmp_ge_u32 s8, s0
	s_cselect_b32 s9, s11, s9
	s_cselect_b32 s8, s10, s8
	s_add_i32 s10, s9, 1
	s_cmp_ge_u32 s8, s0
	s_cselect_b32 s0, s10, s9
	s_xor_b32 s0, s0, s1
	s_sub_i32 s29, s0, s1
.LBB2_7:
	s_cmp_lt_i32 s19, 1
	s_cbranch_scc1 .LBB2_46
; %bb.8:
	s_load_dwordx8 s[8:15], s[4:5], 0x28
	v_bfe_u32 v2, v0, 10, 10
	v_lshl_add_u32 v4, s7, 5, v2
	v_ashrrev_i32_e32 v5, 31, v4
	s_load_dwordx4 s[24:27], s[4:5], 0x58
	s_load_dword s31, s[4:5], 0x48
	v_and_b32_e32 v3, 0x3ff, v0
	s_waitcnt lgkmcnt(0)
	v_mul_lo_u32 v6, v5, s14
	v_mul_lo_u32 v7, v4, s15
	v_mad_u64_u32 v[0:1], s[0:1], v4, s14, 0
	v_add3_u32 v1, v1, v7, v6
	v_lshlrev_b64 v[6:7], 2, v[4:5]
	s_cmp_gt_i32 s29, 0
	v_mov_b32_e32 v8, s13
	v_add_co_u32_e32 v14, vcc, s12, v6
	s_cselect_b64 s[4:5], -1, 0
	v_addc_co_u32_e32 v15, vcc, v8, v7, vcc
	s_cmpk_eq_i32 s20, 0x6f
	v_lshlrev_b64 v[0:1], 2, v[0:1]
	s_cselect_b64 s[38:39], -1, 0
	s_cmp_lg_u32 s31, 1
	v_lshlrev_b32_e32 v6, 5, v2
	v_add_co_u32_e32 v18, vcc, s12, v0
	s_cselect_b64 s[40:41], -1, 0
	v_add_lshl_u32 v16, v6, v3, 2
	v_addc_co_u32_e32 v19, vcc, v8, v1, vcc
	s_cmp_lg_u32 s21, 0
	v_mul_lo_u32 v6, v5, s26
	v_mul_lo_u32 v7, v4, s27
	v_mad_u64_u32 v[0:1], s[34:35], v4, s26, 0
	s_mul_i32 s7, s6, s19
	v_cmp_gt_i32_e64 s[0:1], s23, v4
	s_cselect_b64 s[12:13], -1, 0
	s_cmp_lg_u32 s16, 1
	v_add3_u32 v1, v1, v7, v6
	v_mov_b32_e32 v6, 0x1000
	s_cselect_b64 s[20:21], -1, 0
	s_and_b64 s[34:35], s[2:3], s[0:1]
	s_xor_b64 s[2:3], s[38:39], s[40:41]
	v_lshl_add_u32 v21, v2, 7, v6
	v_add_u32_e32 v6, s7, v3
	s_xor_b64 s[38:39], s[2:3], -1
	v_mad_u64_u32 v[6:7], s[2:3], s19, v6, v[2:3]
	s_mul_i32 s23, s19, s19
	v_cndmask_b32_e64 v7, 0, 1, s[4:5]
	s_mov_b32 s18, 0
	v_add_u32_e32 v17, 0x1000, v16
	v_cmp_neq_f32_e64 s[36:37], s30, 0
	v_lshlrev_b32_e32 v20, 2, v3
	s_lshl_b32 s16, s19, 5
	s_mul_i32 s23, s23, s22
	v_cmp_ne_u32_e64 s[2:3], 1, v7
	v_mov_b32_e32 v9, 0
	s_branch .LBB2_10
.LBB2_9:                                ;   in Loop: Header=BB2_10 Depth=1
	s_or_b64 exec, exec, s[4:5]
	s_add_i32 s18, s18, 32
	s_cmp_lt_i32 s18, s19
	v_add_u32_e32 v6, s16, v6
	s_cbranch_scc0 .LBB2_46
.LBB2_10:                               ; =>This Loop Header: Depth=1
                                        ;     Child Loop BB2_13 Depth 2
                                        ;       Child Loop BB2_15 Depth 3
	v_add_u32_e32 v10, s18, v3
	s_and_b64 vcc, exec, s[2:3]
	v_cmp_gt_i32_e64 s[4:5], s19, v10
	v_mov_b32_e32 v7, v9
	s_cbranch_vccnz .LBB2_37
; %bb.11:                               ;   in Loop: Header=BB2_10 Depth=1
	s_mov_b32 s31, 0
	v_mov_b32_e32 v7, 0
	v_mov_b32_e32 v11, v6
	s_branch .LBB2_13
.LBB2_12:                               ;   in Loop: Header=BB2_13 Depth=2
	s_add_i32 s31, s31, 1
	s_cmp_eq_u32 s31, s29
	v_add_u32_e32 v11, s23, v11
	s_cbranch_scc1 .LBB2_37
.LBB2_13:                               ;   Parent Loop BB2_10 Depth=1
                                        ; =>  This Loop Header: Depth=2
                                        ;       Child Loop BB2_15 Depth 3
	s_mul_i32 s33, s31, s22
	s_add_i32 s40, s33, s6
	s_ashr_i32 s41, s40, 31
	s_lshl_b64 s[42:43], s[40:41], 2
	s_add_u32 s42, s8, s42
	s_addc_u32 s43, s9, s43
	s_load_dword s41, s[42:43], 0x0
	s_mul_i32 s33, s40, s19
	s_mov_b32 s50, 0
	s_waitcnt lgkmcnt(0)
	s_sub_i32 s40, s41, s17
	s_cmp_gt_i32 s40, -1
	s_mul_i32 s42, s40, s19
	s_cselect_b64 s[40:41], -1, 0
	v_add_u32_e32 v22, s42, v3
	s_branch .LBB2_15
.LBB2_14:                               ;   in Loop: Header=BB2_15 Depth=3
	s_add_i32 s50, s50, 32
	s_cmp_ge_i32 s50, s19
	s_barrier
	s_cbranch_scc1 .LBB2_12
.LBB2_15:                               ;   Parent Loop BB2_10 Depth=1
                                        ;     Parent Loop BB2_13 Depth=2
                                        ; =>    This Inner Loop Header: Depth=3
	v_add_u32_e32 v8, s50, v3
	v_cmp_gt_i32_e32 vcc, s19, v8
	s_and_b64 s[42:43], s[0:1], vcc
	s_and_b64 s[44:45], s[42:43], s[40:41]
	s_and_b64 vcc, exec, s[38:39]
	s_cbranch_vccz .LBB2_19
; %bb.16:                               ;   in Loop: Header=BB2_15 Depth=3
	s_mov_b64 s[46:47], 0
	s_mov_b64 s[42:43], 0
                                        ; implicit-def: $vgpr12_vgpr13
	s_and_saveexec_b64 s[48:49], s[44:45]
	s_xor_b64 s[48:49], exec, s[48:49]
; %bb.17:                               ;   in Loop: Header=BB2_15 Depth=3
	v_add_u32_e32 v23, s50, v22
	v_mad_u64_u32 v[12:13], s[52:53], v23, s14, 0
	v_mov_b32_e32 v8, v13
	v_mad_u64_u32 v[24:25], s[52:53], v23, s15, v[8:9]
	v_mov_b32_e32 v13, v24
	v_lshlrev_b64 v[12:13], 2, v[12:13]
	v_add_co_u32_e32 v12, vcc, v14, v12
	s_mov_b64 s[42:43], exec
	v_addc_co_u32_e32 v13, vcc, v15, v13, vcc
; %bb.18:                               ;   in Loop: Header=BB2_15 Depth=3
	s_or_b64 exec, exec, s[48:49]
	s_mov_b32 s48, 0
	s_and_b64 vcc, exec, s[46:47]
	s_cbranch_vccnz .LBB2_20
	s_branch .LBB2_23
.LBB2_19:                               ;   in Loop: Header=BB2_15 Depth=3
	s_mov_b64 s[42:43], 0
                                        ; implicit-def: $vgpr12_vgpr13
                                        ; implicit-def: $sgpr48
	s_cbranch_execz .LBB2_23
.LBB2_20:                               ;   in Loop: Header=BB2_15 Depth=3
                                        ; implicit-def: $vgpr12_vgpr13
	s_and_saveexec_b64 s[46:47], s[44:45]
; %bb.21:                               ;   in Loop: Header=BB2_15 Depth=3
	v_add_u32_e32 v8, s50, v22
	v_lshlrev_b64 v[12:13], 2, v[8:9]
	v_add_co_u32_e32 v12, vcc, v18, v12
	v_addc_co_u32_e32 v13, vcc, v19, v13, vcc
	s_or_b64 s[42:43], s[42:43], exec
; %bb.22:                               ;   in Loop: Header=BB2_15 Depth=3
	s_or_b64 exec, exec, s[46:47]
	s_mov_b32 s48, 0
.LBB2_23:                               ;   in Loop: Header=BB2_15 Depth=3
	v_mov_b32_e32 v23, s48
	s_and_saveexec_b64 s[44:45], s[42:43]
	s_cbranch_execz .LBB2_25
; %bb.24:                               ;   in Loop: Header=BB2_15 Depth=3
	global_load_dword v23, v[12:13], off
.LBB2_25:                               ;   in Loop: Header=BB2_15 Depth=3
	s_or_b64 exec, exec, s[44:45]
	v_add_u32_e32 v8, s50, v2
	v_cmp_gt_i32_e32 vcc, s19, v8
	s_and_b64 s[42:43], s[4:5], vcc
	s_and_b64 s[44:45], s[42:43], s[40:41]
	s_and_b64 vcc, exec, s[12:13]
	s_waitcnt vmcnt(0)
	ds_write_b32 v17, v23
	s_cbranch_vccz .LBB2_33
; %bb.26:                               ;   in Loop: Header=BB2_15 Depth=3
	s_mov_b64 s[46:47], 0
	s_mov_b64 s[42:43], 0
                                        ; implicit-def: $vgpr12
	s_and_saveexec_b64 s[48:49], s[44:45]
	s_xor_b64 s[48:49], exec, s[48:49]
; %bb.27:                               ;   in Loop: Header=BB2_15 Depth=3
	v_add_u32_e32 v8, s33, v8
	s_mov_b64 s[42:43], exec
	v_mad_u64_u32 v[12:13], s[52:53], v8, s19, v[10:11]
; %bb.28:                               ;   in Loop: Header=BB2_15 Depth=3
	s_or_b64 exec, exec, s[48:49]
	s_mov_b32 s48, 0
	s_and_b64 vcc, exec, s[46:47]
	s_cbranch_vccnz .LBB2_34
.LBB2_29:                               ;   in Loop: Header=BB2_15 Depth=3
	v_mov_b32_e32 v8, s48
	s_and_saveexec_b64 s[44:45], s[42:43]
	s_cbranch_execz .LBB2_31
.LBB2_30:                               ;   in Loop: Header=BB2_15 Depth=3
	v_ashrrev_i32_e32 v13, 31, v12
	v_lshlrev_b64 v[12:13], 2, v[12:13]
	v_mov_b32_e32 v8, s11
	v_add_co_u32_e32 v12, vcc, s10, v12
	v_addc_co_u32_e32 v13, vcc, v8, v13, vcc
	global_load_dword v8, v[12:13], off
.LBB2_31:                               ;   in Loop: Header=BB2_15 Depth=3
	s_or_b64 exec, exec, s[44:45]
	s_andn2_b64 vcc, exec, s[40:41]
	s_waitcnt vmcnt(0)
	ds_write_b32 v16, v8
	s_waitcnt lgkmcnt(0)
	s_barrier
	s_cbranch_vccnz .LBB2_14
; %bb.32:                               ;   in Loop: Header=BB2_15 Depth=3
	ds_read2_b32 v[12:13], v20 offset1:32
	ds_read_b128 v[24:27], v21
	ds_read_b128 v[28:31], v21 offset:16
	ds_read2_b32 v[40:41], v20 offset0:64 offset1:96
	ds_read_b128 v[32:35], v21 offset:32
	ds_read_b128 v[36:39], v21 offset:48
	ds_read2_b32 v[42:43], v20 offset0:128 offset1:160
	s_waitcnt lgkmcnt(5)
	v_fmac_f32_e32 v7, v12, v24
	v_fmac_f32_e32 v7, v13, v25
	ds_read2_b32 v[12:13], v20 offset0:192 offset1:224
	s_waitcnt lgkmcnt(4)
	v_fmac_f32_e32 v7, v40, v26
	v_fmac_f32_e32 v7, v41, v27
	s_waitcnt lgkmcnt(1)
	v_fmac_f32_e32 v7, v42, v28
	v_add_u32_e32 v8, 0x400, v20
	ds_read2_b32 v[24:25], v8 offset1:32
	v_fmac_f32_e32 v7, v43, v29
	s_waitcnt lgkmcnt(1)
	v_fmac_f32_e32 v7, v12, v30
	v_fmac_f32_e32 v7, v13, v31
	ds_read2_b32 v[12:13], v8 offset0:64 offset1:96
	ds_read2_b32 v[26:27], v8 offset0:128 offset1:160
	s_waitcnt lgkmcnt(2)
	v_fmac_f32_e32 v7, v24, v32
	v_fmac_f32_e32 v7, v25, v33
	ds_read2_b32 v[28:29], v8 offset0:192 offset1:224
	s_waitcnt lgkmcnt(2)
	v_fmac_f32_e32 v7, v12, v34
	v_fmac_f32_e32 v7, v13, v35
	s_waitcnt lgkmcnt(1)
	v_fmac_f32_e32 v7, v26, v36
	v_add_u32_e32 v8, 0x800, v20
	v_fmac_f32_e32 v7, v27, v37
	ds_read2_b32 v[12:13], v8 offset1:32
	ds_read_b128 v[24:27], v21 offset:64
	s_waitcnt lgkmcnt(2)
	v_fmac_f32_e32 v7, v28, v38
	v_fmac_f32_e32 v7, v29, v39
	ds_read2_b32 v[32:33], v8 offset0:64 offset1:96
	ds_read2_b32 v[34:35], v8 offset0:128 offset1:160
	ds_read_b128 v[28:31], v21 offset:80
	s_waitcnt lgkmcnt(3)
	v_fmac_f32_e32 v7, v12, v24
	v_fmac_f32_e32 v7, v13, v25
	ds_read2_b32 v[12:13], v8 offset0:192 offset1:224
	s_waitcnt lgkmcnt(3)
	v_fmac_f32_e32 v7, v32, v26
	v_fmac_f32_e32 v7, v33, v27
	v_add_u32_e32 v8, 0xc00, v20
	s_waitcnt lgkmcnt(1)
	v_fmac_f32_e32 v7, v34, v28
	ds_read2_b32 v[32:33], v8 offset1:32
	ds_read_b128 v[24:27], v21 offset:96
	v_fmac_f32_e32 v7, v35, v29
	s_waitcnt lgkmcnt(2)
	v_fmac_f32_e32 v7, v12, v30
	v_fmac_f32_e32 v7, v13, v31
	ds_read2_b32 v[12:13], v8 offset0:64 offset1:96
	ds_read_b128 v[28:31], v21 offset:112
	ds_read2_b32 v[34:35], v8 offset0:128 offset1:160
	s_waitcnt lgkmcnt(3)
	v_fmac_f32_e32 v7, v32, v24
	v_fmac_f32_e32 v7, v33, v25
	ds_read2_b32 v[24:25], v8 offset0:192 offset1:224
	s_waitcnt lgkmcnt(3)
	v_fmac_f32_e32 v7, v12, v26
	v_fmac_f32_e32 v7, v13, v27
	s_waitcnt lgkmcnt(1)
	v_fmac_f32_e32 v7, v34, v28
	v_fmac_f32_e32 v7, v35, v29
	;; [unrolled: 3-line block ×3, first 2 shown]
	s_branch .LBB2_14
.LBB2_33:                               ;   in Loop: Header=BB2_15 Depth=3
	s_mov_b64 s[42:43], 0
                                        ; implicit-def: $vgpr12
                                        ; implicit-def: $sgpr48
	s_cbranch_execz .LBB2_29
.LBB2_34:                               ;   in Loop: Header=BB2_15 Depth=3
                                        ; implicit-def: $vgpr12
	s_and_saveexec_b64 s[46:47], s[44:45]
; %bb.35:                               ;   in Loop: Header=BB2_15 Depth=3
	v_add_u32_e32 v12, s50, v11
	s_or_b64 s[42:43], s[42:43], exec
; %bb.36:                               ;   in Loop: Header=BB2_15 Depth=3
	s_or_b64 exec, exec, s[46:47]
	s_mov_b32 s48, 0
	v_mov_b32_e32 v8, s48
	s_and_saveexec_b64 s[44:45], s[42:43]
	s_cbranch_execnz .LBB2_30
	s_branch .LBB2_31
.LBB2_37:                               ;   in Loop: Header=BB2_10 Depth=1
	v_add_u32_e32 v8, s7, v10
	v_ashrrev_i32_e32 v11, 31, v8
	s_and_b64 vcc, exec, s[20:21]
	s_cbranch_vccz .LBB2_39
; %bb.38:                               ;   in Loop: Header=BB2_10 Depth=1
	v_mad_u64_u32 v[12:13], s[4:5], v8, s26, v[4:5]
	v_mul_lo_u32 v22, v8, s27
	v_mul_lo_u32 v23, v11, s26
	v_add3_u32 v13, v23, v13, v22
	s_cbranch_execz .LBB2_40
	s_branch .LBB2_41
.LBB2_39:                               ;   in Loop: Header=BB2_10 Depth=1
                                        ; implicit-def: $vgpr12_vgpr13
.LBB2_40:                               ;   in Loop: Header=BB2_10 Depth=1
	v_add_co_u32_e32 v12, vcc, v0, v8
	v_addc_co_u32_e32 v13, vcc, v1, v11, vcc
.LBB2_41:                               ;   in Loop: Header=BB2_10 Depth=1
	v_cmp_gt_i32_e32 vcc, s19, v10
	s_and_b64 s[40:41], s[34:35], vcc
	s_and_saveexec_b64 s[4:5], s[40:41]
	s_cbranch_execz .LBB2_9
; %bb.42:                               ;   in Loop: Header=BB2_10 Depth=1
	s_and_b64 vcc, exec, s[36:37]
	v_lshlrev_b64 v[10:11], 2, v[12:13]
	v_mul_f32_e32 v7, s28, v7
	s_cbranch_vccz .LBB2_44
; %bb.43:                               ;   in Loop: Header=BB2_10 Depth=1
	v_mov_b32_e32 v8, s25
	v_add_co_u32_e32 v12, vcc, s24, v10
	v_addc_co_u32_e32 v13, vcc, v8, v11, vcc
	global_load_dword v8, v[12:13], off
	s_waitcnt vmcnt(0)
	v_fma_f32 v8, s30, v8, v7
	global_store_dword v[12:13], v8, off
	s_cbranch_execnz .LBB2_9
	s_branch .LBB2_45
.LBB2_44:                               ;   in Loop: Header=BB2_10 Depth=1
.LBB2_45:                               ;   in Loop: Header=BB2_10 Depth=1
	v_mov_b32_e32 v8, s25
	v_add_co_u32_e32 v10, vcc, s24, v10
	v_addc_co_u32_e32 v11, vcc, v8, v11, vcc
	global_store_dword v[10:11], v7, off
	s_branch .LBB2_9
.LBB2_46:
	s_endpgm
	.section	.rodata,"a",@progbits
	.p2align	6, 0x0
	.amdhsa_kernel _ZN9rocsparseL30bellmm_general_blockdim_kernelILi32ELi32EfifffEEv20rocsparse_operation_S1_20rocsparse_direction_T2_S3_NS_24const_host_device_scalarIT1_EES3_S3_PKS3_PKT3_PKT4_l16rocsparse_order_S6_PT5_lSF_21rocsparse_index_base_b
		.amdhsa_group_segment_fixed_size 8192
		.amdhsa_private_segment_fixed_size 0
		.amdhsa_kernarg_size 116
		.amdhsa_user_sgpr_count 6
		.amdhsa_user_sgpr_private_segment_buffer 1
		.amdhsa_user_sgpr_dispatch_ptr 0
		.amdhsa_user_sgpr_queue_ptr 0
		.amdhsa_user_sgpr_kernarg_segment_ptr 1
		.amdhsa_user_sgpr_dispatch_id 0
		.amdhsa_user_sgpr_flat_scratch_init 0
		.amdhsa_user_sgpr_kernarg_preload_length 0
		.amdhsa_user_sgpr_kernarg_preload_offset 0
		.amdhsa_user_sgpr_private_segment_size 0
		.amdhsa_uses_dynamic_stack 0
		.amdhsa_system_sgpr_private_segment_wavefront_offset 0
		.amdhsa_system_sgpr_workgroup_id_x 1
		.amdhsa_system_sgpr_workgroup_id_y 1
		.amdhsa_system_sgpr_workgroup_id_z 0
		.amdhsa_system_sgpr_workgroup_info 0
		.amdhsa_system_vgpr_workitem_id 1
		.amdhsa_next_free_vgpr 44
		.amdhsa_next_free_sgpr 54
		.amdhsa_accum_offset 44
		.amdhsa_reserve_vcc 1
		.amdhsa_reserve_flat_scratch 0
		.amdhsa_float_round_mode_32 0
		.amdhsa_float_round_mode_16_64 0
		.amdhsa_float_denorm_mode_32 3
		.amdhsa_float_denorm_mode_16_64 3
		.amdhsa_dx10_clamp 1
		.amdhsa_ieee_mode 1
		.amdhsa_fp16_overflow 0
		.amdhsa_tg_split 0
		.amdhsa_exception_fp_ieee_invalid_op 0
		.amdhsa_exception_fp_denorm_src 0
		.amdhsa_exception_fp_ieee_div_zero 0
		.amdhsa_exception_fp_ieee_overflow 0
		.amdhsa_exception_fp_ieee_underflow 0
		.amdhsa_exception_fp_ieee_inexact 0
		.amdhsa_exception_int_div_zero 0
	.end_amdhsa_kernel
	.section	.text._ZN9rocsparseL30bellmm_general_blockdim_kernelILi32ELi32EfifffEEv20rocsparse_operation_S1_20rocsparse_direction_T2_S3_NS_24const_host_device_scalarIT1_EES3_S3_PKS3_PKT3_PKT4_l16rocsparse_order_S6_PT5_lSF_21rocsparse_index_base_b,"axG",@progbits,_ZN9rocsparseL30bellmm_general_blockdim_kernelILi32ELi32EfifffEEv20rocsparse_operation_S1_20rocsparse_direction_T2_S3_NS_24const_host_device_scalarIT1_EES3_S3_PKS3_PKT3_PKT4_l16rocsparse_order_S6_PT5_lSF_21rocsparse_index_base_b,comdat
.Lfunc_end2:
	.size	_ZN9rocsparseL30bellmm_general_blockdim_kernelILi32ELi32EfifffEEv20rocsparse_operation_S1_20rocsparse_direction_T2_S3_NS_24const_host_device_scalarIT1_EES3_S3_PKS3_PKT3_PKT4_l16rocsparse_order_S6_PT5_lSF_21rocsparse_index_base_b, .Lfunc_end2-_ZN9rocsparseL30bellmm_general_blockdim_kernelILi32ELi32EfifffEEv20rocsparse_operation_S1_20rocsparse_direction_T2_S3_NS_24const_host_device_scalarIT1_EES3_S3_PKS3_PKT3_PKT4_l16rocsparse_order_S6_PT5_lSF_21rocsparse_index_base_b
                                        ; -- End function
	.section	.AMDGPU.csdata,"",@progbits
; Kernel info:
; codeLenInByte = 1708
; NumSgprs: 58
; NumVgprs: 44
; NumAgprs: 0
; TotalNumVgprs: 44
; ScratchSize: 0
; MemoryBound: 0
; FloatMode: 240
; IeeeMode: 1
; LDSByteSize: 8192 bytes/workgroup (compile time only)
; SGPRBlocks: 7
; VGPRBlocks: 5
; NumSGPRsForWavesPerEU: 58
; NumVGPRsForWavesPerEU: 44
; AccumOffset: 44
; Occupancy: 8
; WaveLimiterHint : 0
; COMPUTE_PGM_RSRC2:SCRATCH_EN: 0
; COMPUTE_PGM_RSRC2:USER_SGPR: 6
; COMPUTE_PGM_RSRC2:TRAP_HANDLER: 0
; COMPUTE_PGM_RSRC2:TGID_X_EN: 1
; COMPUTE_PGM_RSRC2:TGID_Y_EN: 1
; COMPUTE_PGM_RSRC2:TGID_Z_EN: 0
; COMPUTE_PGM_RSRC2:TIDIG_COMP_CNT: 1
; COMPUTE_PGM_RSRC3_GFX90A:ACCUM_OFFSET: 10
; COMPUTE_PGM_RSRC3_GFX90A:TG_SPLIT: 0
	.section	.text._ZN9rocsparseL30bellmm_general_blockdim_kernelILi32ELi32EflfffEEv20rocsparse_operation_S1_20rocsparse_direction_T2_S3_NS_24const_host_device_scalarIT1_EES3_S3_PKS3_PKT3_PKT4_l16rocsparse_order_S6_PT5_lSF_21rocsparse_index_base_b,"axG",@progbits,_ZN9rocsparseL30bellmm_general_blockdim_kernelILi32ELi32EflfffEEv20rocsparse_operation_S1_20rocsparse_direction_T2_S3_NS_24const_host_device_scalarIT1_EES3_S3_PKS3_PKT3_PKT4_l16rocsparse_order_S6_PT5_lSF_21rocsparse_index_base_b,comdat
	.globl	_ZN9rocsparseL30bellmm_general_blockdim_kernelILi32ELi32EflfffEEv20rocsparse_operation_S1_20rocsparse_direction_T2_S3_NS_24const_host_device_scalarIT1_EES3_S3_PKS3_PKT3_PKT4_l16rocsparse_order_S6_PT5_lSF_21rocsparse_index_base_b ; -- Begin function _ZN9rocsparseL30bellmm_general_blockdim_kernelILi32ELi32EflfffEEv20rocsparse_operation_S1_20rocsparse_direction_T2_S3_NS_24const_host_device_scalarIT1_EES3_S3_PKS3_PKT3_PKT4_l16rocsparse_order_S6_PT5_lSF_21rocsparse_index_base_b
	.p2align	8
	.type	_ZN9rocsparseL30bellmm_general_blockdim_kernelILi32ELi32EflfffEEv20rocsparse_operation_S1_20rocsparse_direction_T2_S3_NS_24const_host_device_scalarIT1_EES3_S3_PKS3_PKT3_PKT4_l16rocsparse_order_S6_PT5_lSF_21rocsparse_index_base_b,@function
_ZN9rocsparseL30bellmm_general_blockdim_kernelILi32ELi32EflfffEEv20rocsparse_operation_S1_20rocsparse_direction_T2_S3_NS_24const_host_device_scalarIT1_EES3_S3_PKS3_PKT3_PKT4_l16rocsparse_order_S6_PT5_lSF_21rocsparse_index_base_b: ; @_ZN9rocsparseL30bellmm_general_blockdim_kernelILi32ELi32EflfffEEv20rocsparse_operation_S1_20rocsparse_direction_T2_S3_NS_24const_host_device_scalarIT1_EES3_S3_PKS3_PKT3_PKT4_l16rocsparse_order_S6_PT5_lSF_21rocsparse_index_base_b
; %bb.0:
	s_load_dwordx4 s[28:31], s[4:5], 0x78
	s_load_dwordx8 s[12:19], s[4:5], 0x10
	s_load_dwordx2 s[34:35], s[4:5], 0x60
	s_mov_b32 s0, s7
	s_waitcnt lgkmcnt(0)
	s_bitcmp1_b32 s30, 0
	s_cselect_b64 s[8:9], -1, 0
	s_xor_b64 s[2:3], s[8:9], -1
	s_and_b64 vcc, exec, s[8:9]
	s_cbranch_vccnz .LBB3_2
; %bb.1:
	s_load_dword s16, s[16:17], 0x0
.LBB3_2:
	s_andn2_b64 vcc, exec, s[2:3]
	s_cbranch_vccnz .LBB3_4
; %bb.3:
	s_load_dword s34, s[34:35], 0x0
.LBB3_4:
	s_waitcnt lgkmcnt(0)
	v_cmp_eq_f32_e64 s[2:3], s16, 0
	v_cmp_eq_f32_e64 s[8:9], s34, 1.0
	s_and_b64 s[2:3], s[2:3], s[8:9]
	s_mov_b32 s7, 0
	s_and_b64 vcc, exec, s[2:3]
	s_cbranch_vccnz .LBB3_45
; %bb.5:
	s_load_dwordx2 s[30:31], s[4:5], 0x30
	v_pk_mov_b32 v[2:3], s[12:13], s[12:13] op_sel:[0,1]
	v_cmp_ge_i64_e32 vcc, s[6:7], v[2:3]
	v_cmp_lt_i64_e64 s[2:3], s[6:7], v[2:3]
	s_mov_b64 s[36:37], 0
	s_cbranch_vccnz .LBB3_9
; %bb.6:
	s_waitcnt lgkmcnt(0)
	s_or_b64 s[8:9], s[18:19], s[30:31]
	s_mov_b32 s8, 0
	s_cmp_lg_u64 s[8:9], 0
	s_cbranch_scc0 .LBB3_46
; %bb.7:
	s_ashr_i32 s10, s31, 31
	s_add_u32 s8, s30, s10
	s_mov_b32 s11, s10
	s_addc_u32 s9, s31, s10
	s_xor_b64 s[22:23], s[8:9], s[10:11]
	v_cvt_f32_u32_e32 v1, s22
	v_cvt_f32_u32_e32 v2, s23
	s_sub_u32 s1, 0, s22
	s_subb_u32 s7, 0, s23
	v_madmk_f32 v1, v2, 0x4f800000, v1
	v_rcp_f32_e32 v1, v1
	v_mul_f32_e32 v1, 0x5f7ffffc, v1
	v_mul_f32_e32 v2, 0x2f800000, v1
	v_trunc_f32_e32 v2, v2
	v_madmk_f32 v1, v2, 0xcf800000, v1
	v_cvt_u32_f32_e32 v2, v2
	v_cvt_u32_f32_e32 v1, v1
	v_readfirstlane_b32 s8, v2
	v_readfirstlane_b32 s9, v1
	s_mul_i32 s17, s1, s8
	s_mul_hi_u32 s25, s1, s9
	s_mul_i32 s24, s7, s9
	s_add_i32 s17, s25, s17
	s_add_i32 s17, s17, s24
	s_mul_i32 s26, s1, s9
	s_mul_hi_u32 s24, s9, s17
	s_mul_i32 s25, s9, s17
	s_mul_hi_u32 s9, s9, s26
	s_add_u32 s9, s9, s25
	s_addc_u32 s24, 0, s24
	s_mul_hi_u32 s27, s8, s26
	s_mul_i32 s26, s8, s26
	s_add_u32 s9, s9, s26
	s_mul_hi_u32 s25, s8, s17
	s_addc_u32 s9, s24, s27
	s_addc_u32 s24, s25, 0
	s_mul_i32 s17, s8, s17
	s_add_u32 s9, s9, s17
	s_addc_u32 s17, 0, s24
	v_add_co_u32_e32 v1, vcc, s9, v1
	s_cmp_lg_u64 vcc, 0
	s_addc_u32 s8, s8, s17
	v_readfirstlane_b32 s17, v1
	s_mul_i32 s9, s1, s8
	s_mul_hi_u32 s24, s1, s17
	s_add_i32 s9, s24, s9
	s_mul_i32 s7, s7, s17
	s_add_i32 s9, s9, s7
	s_mul_i32 s1, s1, s17
	s_mul_hi_u32 s24, s8, s1
	s_mul_i32 s25, s8, s1
	s_mul_i32 s27, s17, s9
	s_mul_hi_u32 s1, s17, s1
	s_mul_hi_u32 s26, s17, s9
	s_add_u32 s1, s1, s27
	s_addc_u32 s17, 0, s26
	s_add_u32 s1, s1, s25
	s_mul_hi_u32 s7, s8, s9
	s_addc_u32 s1, s17, s24
	s_addc_u32 s7, s7, 0
	s_mul_i32 s9, s8, s9
	s_add_u32 s1, s1, s9
	s_addc_u32 s7, 0, s7
	v_add_co_u32_e32 v1, vcc, s1, v1
	s_cmp_lg_u64 vcc, 0
	s_addc_u32 s1, s8, s7
	s_ashr_i32 s24, s19, 31
	s_add_u32 s8, s18, s24
	s_mov_b32 s25, s24
	s_addc_u32 s9, s19, s24
	s_xor_b64 s[26:27], s[8:9], s[24:25]
	v_readfirstlane_b32 s9, v1
	s_mul_i32 s8, s26, s1
	s_mul_hi_u32 s17, s26, s9
	s_mul_hi_u32 s7, s26, s1
	s_add_u32 s8, s17, s8
	s_addc_u32 s7, 0, s7
	s_mul_hi_u32 s19, s27, s9
	s_mul_i32 s9, s27, s9
	s_add_u32 s8, s8, s9
	s_mul_hi_u32 s17, s27, s1
	s_addc_u32 s7, s7, s19
	s_addc_u32 s8, s17, 0
	s_mul_i32 s1, s27, s1
	s_add_u32 s1, s7, s1
	s_addc_u32 s7, 0, s8
	s_mul_i32 s8, s22, s7
	s_mul_hi_u32 s9, s22, s1
	s_add_i32 s8, s9, s8
	s_mul_i32 s9, s23, s1
	s_add_i32 s17, s8, s9
	s_mul_i32 s9, s22, s1
	v_mov_b32_e32 v1, s9
	s_sub_i32 s8, s27, s17
	v_sub_co_u32_e32 v1, vcc, s26, v1
	s_cmp_lg_u64 vcc, 0
	s_subb_u32 s19, s8, s23
	v_subrev_co_u32_e64 v2, s[8:9], s22, v1
	s_cmp_lg_u64 s[8:9], 0
	s_subb_u32 s8, s19, 0
	s_cmp_ge_u32 s8, s23
	v_readfirstlane_b32 s19, v2
	s_cselect_b32 s9, -1, 0
	s_cmp_ge_u32 s19, s22
	s_cselect_b32 s19, -1, 0
	s_cmp_eq_u32 s8, s23
	s_cselect_b32 s8, s19, s9
	s_add_u32 s9, s1, 1
	s_addc_u32 s19, s7, 0
	s_add_u32 s26, s1, 2
	s_addc_u32 s33, s7, 0
	s_cmp_lg_u32 s8, 0
	s_cselect_b32 s8, s26, s9
	s_cselect_b32 s9, s33, s19
	s_cmp_lg_u64 vcc, 0
	s_subb_u32 s17, s27, s17
	s_cmp_ge_u32 s17, s23
	v_readfirstlane_b32 s26, v1
	s_cselect_b32 s19, -1, 0
	s_cmp_ge_u32 s26, s22
	s_cselect_b32 s22, -1, 0
	s_cmp_eq_u32 s17, s23
	s_cselect_b32 s17, s22, s19
	s_cmp_lg_u32 s17, 0
	s_cselect_b32 s9, s9, s7
	s_cselect_b32 s8, s8, s1
	s_xor_b64 s[10:11], s[24:25], s[10:11]
	s_xor_b64 s[8:9], s[8:9], s[10:11]
	s_sub_u32 s36, s8, s10
	s_subb_u32 s37, s9, s11
	s_cbranch_execnz .LBB3_9
.LBB3_8:
	v_cvt_f32_u32_e32 v1, s30
	s_sub_i32 s1, 0, s30
	s_mov_b32 s37, 0
	v_rcp_iflag_f32_e32 v1, v1
	v_mul_f32_e32 v1, 0x4f7ffffe, v1
	v_cvt_u32_f32_e32 v1, v1
	v_readfirstlane_b32 s7, v1
	s_mul_i32 s1, s1, s7
	s_mul_hi_u32 s1, s7, s1
	s_add_i32 s7, s7, s1
	s_mul_hi_u32 s1, s18, s7
	s_mul_i32 s8, s1, s30
	s_sub_i32 s8, s18, s8
	s_add_i32 s7, s1, 1
	s_sub_i32 s9, s8, s30
	s_cmp_ge_u32 s8, s30
	s_cselect_b32 s1, s7, s1
	s_cselect_b32 s8, s9, s8
	s_add_i32 s7, s1, 1
	s_cmp_ge_u32 s8, s30
	s_cselect_b32 s36, s7, s1
.LBB3_9:
	s_waitcnt lgkmcnt(0)
	v_cmp_lt_i64_e64 s[8:9], s[30:31], 1
	s_and_b64 vcc, exec, s[8:9]
	s_cbranch_vccnz .LBB3_45
; %bb.10:
	v_bfe_u32 v2, v0, 10, 10
	s_lshl_b32 s0, s0, 5
	v_add_co_u32_e32 v4, vcc, s0, v2
	v_addc_co_u32_e64 v5, s[0:1], 0, 0, vcc
	s_load_dwordx2 s[38:39], s[4:5], 0x4
	s_load_dwordx4 s[8:11], s[4:5], 0x68
	s_load_dword s35, s[4:5], 0x58
	s_mul_i32 s0, s6, s31
	s_mul_hi_u32 s1, s6, s30
	s_load_dwordx8 s[20:27], s[4:5], 0x38
	s_add_i32 s5, s1, s0
	s_mul_i32 s0, s30, s31
	s_mul_hi_u32 s1, s30, s30
	s_add_i32 s1, s1, s0
	s_add_i32 s7, s1, s0
	s_waitcnt lgkmcnt(0)
	s_cmpk_eq_i32 s38, 0x6f
	s_cselect_b64 s[42:43], -1, 0
	s_cmp_lg_u32 s35, 1
	v_lshlrev_b64 v[6:7], 2, v[4:5]
	v_and_b32_e32 v0, 0x3ff, v0
	s_cselect_b64 s[44:45], -1, 0
	v_mov_b32_e32 v10, s25
	v_add_co_u32_e32 v1, vcc, s24, v6
	v_lshlrev_b32_e32 v6, 5, v2
	s_cmp_lg_u32 s39, 0
	v_cmp_gt_i64_e64 s[0:1], s[14:15], v[4:5]
	v_addc_co_u32_e32 v3, vcc, v10, v7, vcc
	v_add_lshl_u32 v24, v6, v0, 2
	s_cselect_b64 s[14:15], -1, 0
	s_cmp_lg_u32 s28, 1
	v_mul_lo_u32 v8, v5, s10
	v_mul_lo_u32 v9, v4, s11
	v_mad_u64_u32 v[6:7], s[38:39], v4, s10, 0
	s_mov_b32 s33, s29
	s_cselect_b64 s[28:29], -1, 0
	v_add3_u32 v7, v7, v9, v8
	s_and_b64 s[38:39], s[2:3], s[0:1]
	s_xor_b64 s[2:3], s[42:43], s[44:45]
	v_mov_b32_e32 v8, 0x1000
	s_xor_b64 s[42:43], s[2:3], -1
	v_lshl_add_u32 v27, v2, 7, v8
	v_mul_lo_u32 v12, s27, v4
	v_mul_lo_u32 v13, s26, v5
	v_mad_u64_u32 v[8:9], s[2:3], s26, v4, 0
	v_add3_u32 v9, v9, v13, v12
	v_lshlrev_b32_e32 v26, 2, v0
	v_lshlrev_b64 v[8:9], 2, v[8:9]
	v_add_co_u32_e32 v8, vcc, v8, v26
	v_addc_co_u32_e32 v9, vcc, 0, v9, vcc
	s_mul_i32 s4, s6, s30
	v_add_co_u32_e32 v8, vcc, s24, v8
	v_addc_co_u32_e32 v9, vcc, v10, v9, vcc
	s_lshl_b64 s[2:3], s[4:5], 2
	v_mov_b32_e32 v10, s3
	v_add_co_u32_e32 v12, vcc, s2, v26
	v_mov_b32_e32 v11, 0
	v_addc_co_u32_e32 v13, vcc, 0, v10, vcc
	v_lshlrev_b32_e32 v10, 2, v2
	s_mul_i32 s17, s30, s30
	v_mad_u64_u32 v[10:11], s[2:3], s30, v12, v[10:11]
	s_mul_i32 s2, s17, s13
	s_mul_hi_u32 s3, s17, s12
	v_mul_lo_u32 v13, s30, v13
	v_mul_lo_u32 v14, s31, v12
	s_add_i32 s2, s3, s2
	s_mul_i32 s3, s7, s12
	v_add3_u32 v11, v14, v11, v13
	v_mov_b32_e32 v12, s23
	v_add_co_u32_e32 v10, vcc, s22, v10
	s_add_i32 s3, s2, s3
	s_mul_i32 s2, s17, s12
	s_mov_b64 s[18:19], 0
	v_add_u32_e32 v25, 0x1000, v24
	v_cmp_neq_f32_e64 s[40:41], s34, 0
	s_lshl_b64 s[24:25], s[30:31], 2
	v_addc_co_u32_e32 v11, vcc, v12, v11, vcc
	s_lshl_b64 s[44:45], s[30:31], 7
	s_lshl_b64 s[46:47], s[2:3], 2
	v_cmp_gt_i64_e64 s[48:49], s[36:37], 0
	s_branch .LBB3_12
.LBB3_11:                               ;   in Loop: Header=BB3_12 Depth=1
	s_or_b64 exec, exec, s[2:3]
	s_add_u32 s18, s18, 32
	v_mov_b32_e32 v12, s45
	v_add_co_u32_e32 v10, vcc, s44, v10
	s_addc_u32 s19, s19, 0
	v_addc_co_u32_e32 v11, vcc, v11, v12, vcc
	v_pk_mov_b32 v[12:13], s[30:31], s[30:31] op_sel:[0,1]
	v_cmp_lt_i64_e32 vcc, s[18:19], v[12:13]
	s_cbranch_vccz .LBB3_45
.LBB3_12:                               ; =>This Loop Header: Depth=1
                                        ;     Child Loop BB3_15 Depth 2
                                        ;       Child Loop BB3_17 Depth 3
	v_mov_b32_e32 v13, s19
	v_add_co_u32_e32 v12, vcc, s18, v0
	v_addc_co_u32_e32 v13, vcc, 0, v13, vcc
	s_andn2_b64 vcc, exec, s[48:49]
	v_cmp_gt_i64_e64 s[2:3], s[30:31], v[12:13]
	s_cbranch_vccnz .LBB3_35
; %bb.13:                               ;   in Loop: Header=BB3_12 Depth=1
	v_lshlrev_b64 v[14:15], 2, v[12:13]
	v_mov_b32_e32 v16, s23
	v_add_co_u32_e32 v29, vcc, s22, v14
	v_addc_co_u32_e32 v30, vcc, v16, v15, vcc
	s_mov_b64 s[50:51], 0
	v_mov_b32_e32 v28, 0
	v_pk_mov_b32 v[14:15], v[10:11], v[10:11] op_sel:[0,1]
	s_branch .LBB3_15
.LBB3_14:                               ;   in Loop: Header=BB3_15 Depth=2
	s_add_u32 s50, s50, 1
	s_addc_u32 s51, s51, 0
	v_mov_b32_e32 v16, s47
	v_add_co_u32_e32 v14, vcc, s46, v14
	s_cmp_eq_u64 s[50:51], s[36:37]
	v_addc_co_u32_e32 v15, vcc, v15, v16, vcc
	s_cbranch_scc1 .LBB3_36
.LBB3_15:                               ;   Parent Loop BB3_12 Depth=1
                                        ; =>  This Loop Header: Depth=2
                                        ;       Child Loop BB3_17 Depth 3
	s_mul_i32 s35, s50, s13
	s_mul_hi_u32 s52, s50, s12
	s_add_i32 s35, s52, s35
	s_mul_i32 s52, s51, s12
	s_add_i32 s35, s35, s52
	s_mul_i32 s52, s50, s12
	s_add_u32 s52, s52, s6
	s_addc_u32 s53, s35, 0
	s_mul_i32 s35, s17, s53
	s_mul_hi_u32 s54, s17, s52
	s_add_i32 s35, s54, s35
	s_mul_i32 s54, s7, s52
	s_add_i32 s55, s35, s54
	s_lshl_b64 s[56:57], s[52:53], 3
	s_add_u32 s56, s20, s56
	s_addc_u32 s57, s21, s57
	s_load_dwordx2 s[56:57], s[56:57], 0x0
	s_mul_i32 s54, s17, s52
	v_pk_mov_b32 v[18:19], v[14:15], v[14:15] op_sel:[0,1]
	s_waitcnt lgkmcnt(0)
	s_sub_u32 s56, s56, s33
	s_subb_u32 s57, s57, 0
	s_lshl_b64 s[54:55], s[54:55], 2
	v_mov_b32_e32 v16, s55
	v_add_co_u32_e32 v31, vcc, s54, v29
	s_mul_i32 s35, s56, s31
	s_mul_hi_u32 s58, s56, s30
	v_addc_co_u32_e32 v32, vcc, v30, v16, vcc
	s_mul_i32 s54, s25, s56
	s_mul_i32 s55, s24, s57
	v_mov_b32_e32 v16, s56
	v_cmp_gt_i64_e64 s[52:53], s[56:57], -1
	s_add_i32 s35, s58, s35
	s_mul_i32 s58, s57, s30
	s_add_i32 s57, s55, s54
	v_mad_u64_u32 v[16:17], s[54:55], s24, v16, v[8:9]
	s_add_i32 s35, s35, s58
	s_mul_i32 s64, s56, s30
	v_add_u32_e32 v17, s57, v17
	s_mov_b64 s[54:55], 0
	s_branch .LBB3_17
.LBB3_16:                               ;   in Loop: Header=BB3_17 Depth=3
	v_add_co_u32_e32 v16, vcc, 0x80, v16
	v_addc_co_u32_e32 v17, vcc, 0, v17, vcc
	s_add_u32 s54, s54, 32
	v_add_co_u32_e32 v18, vcc, 0x80, v18
	s_addc_u32 s55, s55, 0
	v_addc_co_u32_e32 v19, vcc, 0, v19, vcc
	v_pk_mov_b32 v[20:21], s[30:31], s[30:31] op_sel:[0,1]
	v_cmp_ge_i64_e32 vcc, s[54:55], v[20:21]
	s_barrier
	s_cbranch_vccnz .LBB3_14
.LBB3_17:                               ;   Parent Loop BB3_12 Depth=1
                                        ;     Parent Loop BB3_15 Depth=2
                                        ; =>    This Inner Loop Header: Depth=3
	v_mov_b32_e32 v20, s55
	v_add_co_u32_e32 v22, vcc, s54, v0
	v_addc_co_u32_e32 v23, vcc, 0, v20, vcc
	v_cmp_gt_i64_e32 vcc, s[30:31], v[22:23]
	s_and_b64 s[56:57], s[0:1], vcc
	s_and_b64 s[58:59], s[56:57], s[52:53]
	s_and_b64 vcc, exec, s[42:43]
	s_cbranch_vccz .LBB3_21
; %bb.18:                               ;   in Loop: Header=BB3_17 Depth=3
	s_mov_b64 s[60:61], 0
	s_mov_b64 s[56:57], 0
                                        ; implicit-def: $vgpr20_vgpr21
	s_and_saveexec_b64 s[62:63], s[58:59]
	s_xor_b64 s[62:63], exec, s[62:63]
; %bb.19:                               ;   in Loop: Header=BB3_17 Depth=3
	v_mov_b32_e32 v20, s35
	v_add_co_u32_e32 v21, vcc, s64, v22
	v_addc_co_u32_e32 v20, vcc, v23, v20, vcc
	v_mul_lo_u32 v22, v20, s26
	v_mul_lo_u32 v23, v21, s27
	v_mad_u64_u32 v[20:21], s[66:67], v21, s26, 0
	v_add3_u32 v21, v21, v23, v22
	v_lshlrev_b64 v[20:21], 2, v[20:21]
	v_add_co_u32_e32 v20, vcc, v1, v20
	s_mov_b64 s[56:57], exec
	v_addc_co_u32_e32 v21, vcc, v3, v21, vcc
; %bb.20:                               ;   in Loop: Header=BB3_17 Depth=3
	s_or_b64 exec, exec, s[62:63]
	s_mov_b32 s62, 0
	s_and_b64 vcc, exec, s[60:61]
	s_cbranch_vccnz .LBB3_22
	s_branch .LBB3_23
.LBB3_21:                               ;   in Loop: Header=BB3_17 Depth=3
	s_mov_b64 s[56:57], 0
                                        ; implicit-def: $vgpr20_vgpr21
                                        ; implicit-def: $sgpr62
	s_cbranch_execz .LBB3_23
.LBB3_22:                               ;   in Loop: Header=BB3_17 Depth=3
	s_andn2_b64 s[56:57], s[56:57], exec
	s_and_b64 s[58:59], s[58:59], exec
	s_mov_b32 s62, 0
	s_or_b64 s[56:57], s[56:57], s[58:59]
	v_pk_mov_b32 v[20:21], v[16:17], v[16:17] op_sel:[0,1]
.LBB3_23:                               ;   in Loop: Header=BB3_17 Depth=3
	v_mov_b32_e32 v33, s62
	s_and_saveexec_b64 s[58:59], s[56:57]
	s_cbranch_execz .LBB3_25
; %bb.24:                               ;   in Loop: Header=BB3_17 Depth=3
	global_load_dword v33, v[20:21], off
.LBB3_25:                               ;   in Loop: Header=BB3_17 Depth=3
	s_or_b64 exec, exec, s[58:59]
	v_mov_b32_e32 v20, s55
	v_add_co_u32_e32 v22, vcc, s54, v2
	v_addc_co_u32_e32 v23, vcc, 0, v20, vcc
	v_cmp_gt_i64_e32 vcc, s[30:31], v[22:23]
	s_and_b64 s[56:57], s[2:3], vcc
	s_and_b64 s[58:59], s[56:57], s[52:53]
	s_and_b64 vcc, exec, s[14:15]
	s_waitcnt vmcnt(0)
	ds_write_b32 v25, v33
	s_cbranch_vccz .LBB3_34
; %bb.26:                               ;   in Loop: Header=BB3_17 Depth=3
	s_mov_b64 s[60:61], 0
	s_mov_b64 s[56:57], 0
                                        ; implicit-def: $vgpr20_vgpr21
	s_and_saveexec_b64 s[62:63], s[58:59]
	s_xor_b64 s[62:63], exec, s[62:63]
; %bb.27:                               ;   in Loop: Header=BB3_17 Depth=3
	v_mul_lo_u32 v23, v23, s30
	v_mul_lo_u32 v33, v22, s31
	v_mad_u64_u32 v[20:21], s[66:67], v22, s30, 0
	v_add3_u32 v21, v21, v33, v23
	v_lshlrev_b64 v[20:21], 2, v[20:21]
	v_add_co_u32_e32 v20, vcc, v31, v20
	s_mov_b64 s[56:57], exec
	v_addc_co_u32_e32 v21, vcc, v32, v21, vcc
; %bb.28:                               ;   in Loop: Header=BB3_17 Depth=3
	s_or_b64 exec, exec, s[62:63]
	s_mov_b32 s62, 0
	s_and_b64 vcc, exec, s[60:61]
	s_cbranch_vccz .LBB3_30
.LBB3_29:                               ;   in Loop: Header=BB3_17 Depth=3
	s_andn2_b64 s[56:57], s[56:57], exec
	s_and_b64 s[58:59], s[58:59], exec
	s_mov_b32 s62, 0
	s_or_b64 s[56:57], s[56:57], s[58:59]
	v_pk_mov_b32 v[20:21], v[18:19], v[18:19] op_sel:[0,1]
.LBB3_30:                               ;   in Loop: Header=BB3_17 Depth=3
	v_mov_b32_e32 v22, s62
	s_and_saveexec_b64 s[58:59], s[56:57]
	s_cbranch_execz .LBB3_32
; %bb.31:                               ;   in Loop: Header=BB3_17 Depth=3
	global_load_dword v22, v[20:21], off
.LBB3_32:                               ;   in Loop: Header=BB3_17 Depth=3
	s_or_b64 exec, exec, s[58:59]
	s_andn2_b64 vcc, exec, s[52:53]
	s_waitcnt vmcnt(0)
	ds_write_b32 v24, v22
	s_waitcnt lgkmcnt(0)
	s_barrier
	s_cbranch_vccnz .LBB3_16
; %bb.33:                               ;   in Loop: Header=BB3_17 Depth=3
	ds_read2_b32 v[46:47], v26 offset1:32
	ds_read_b128 v[20:23], v27
	ds_read_b128 v[34:37], v27 offset:16
	ds_read2_b32 v[48:49], v26 offset0:64 offset1:96
	ds_read_b128 v[38:41], v27 offset:32
	ds_read_b128 v[42:45], v27 offset:48
	ds_read2_b32 v[50:51], v26 offset0:128 offset1:160
	s_waitcnt lgkmcnt(5)
	v_fmac_f32_e32 v28, v46, v20
	v_fmac_f32_e32 v28, v47, v21
	ds_read2_b32 v[20:21], v26 offset0:192 offset1:224
	s_waitcnt lgkmcnt(4)
	v_fmac_f32_e32 v28, v48, v22
	v_fmac_f32_e32 v28, v49, v23
	s_waitcnt lgkmcnt(1)
	v_fmac_f32_e32 v28, v50, v34
	v_add_u32_e32 v33, 0x400, v26
	ds_read2_b32 v[22:23], v33 offset1:32
	v_fmac_f32_e32 v28, v51, v35
	s_waitcnt lgkmcnt(1)
	v_fmac_f32_e32 v28, v20, v36
	v_fmac_f32_e32 v28, v21, v37
	ds_read2_b32 v[20:21], v33 offset0:64 offset1:96
	ds_read2_b32 v[34:35], v33 offset0:128 offset1:160
	s_waitcnt lgkmcnt(2)
	v_fmac_f32_e32 v28, v22, v38
	v_fmac_f32_e32 v28, v23, v39
	ds_read2_b32 v[36:37], v33 offset0:192 offset1:224
	s_waitcnt lgkmcnt(2)
	v_fmac_f32_e32 v28, v20, v40
	v_add_u32_e32 v33, 0x800, v26
	v_fmac_f32_e32 v28, v21, v41
	ds_read2_b32 v[38:39], v33 offset1:32
	ds_read_b128 v[20:23], v27 offset:64
	s_waitcnt lgkmcnt(3)
	v_fmac_f32_e32 v28, v34, v42
	v_fmac_f32_e32 v28, v35, v43
	s_waitcnt lgkmcnt(2)
	v_fmac_f32_e32 v28, v36, v44
	v_fmac_f32_e32 v28, v37, v45
	ds_read2_b32 v[40:41], v33 offset0:64 offset1:96
	ds_read2_b32 v[42:43], v33 offset0:128 offset1:160
	ds_read_b128 v[34:37], v27 offset:80
	s_waitcnt lgkmcnt(3)
	v_fmac_f32_e32 v28, v38, v20
	v_fmac_f32_e32 v28, v39, v21
	ds_read2_b32 v[38:39], v33 offset0:192 offset1:224
	s_waitcnt lgkmcnt(3)
	v_fmac_f32_e32 v28, v40, v22
	v_fmac_f32_e32 v28, v41, v23
	v_add_u32_e32 v33, 0xc00, v26
	s_waitcnt lgkmcnt(1)
	v_fmac_f32_e32 v28, v42, v34
	ds_read2_b32 v[40:41], v33 offset1:32
	ds_read_b128 v[20:23], v27 offset:96
	v_fmac_f32_e32 v28, v43, v35
	s_waitcnt lgkmcnt(2)
	v_fmac_f32_e32 v28, v38, v36
	v_fmac_f32_e32 v28, v39, v37
	ds_read2_b32 v[38:39], v33 offset0:64 offset1:96
	ds_read_b128 v[34:37], v27 offset:112
	ds_read2_b32 v[42:43], v33 offset0:128 offset1:160
	s_waitcnt lgkmcnt(3)
	v_fmac_f32_e32 v28, v40, v20
	v_fmac_f32_e32 v28, v41, v21
	ds_read2_b32 v[20:21], v33 offset0:192 offset1:224
	s_waitcnt lgkmcnt(3)
	v_fmac_f32_e32 v28, v38, v22
	v_fmac_f32_e32 v28, v39, v23
	s_waitcnt lgkmcnt(1)
	v_fmac_f32_e32 v28, v42, v34
	v_fmac_f32_e32 v28, v43, v35
	;; [unrolled: 3-line block ×3, first 2 shown]
	s_branch .LBB3_16
.LBB3_34:                               ;   in Loop: Header=BB3_17 Depth=3
	s_mov_b64 s[56:57], 0
                                        ; implicit-def: $vgpr20_vgpr21
                                        ; implicit-def: $sgpr62
	s_cbranch_execnz .LBB3_29
	s_branch .LBB3_30
.LBB3_35:                               ;   in Loop: Header=BB3_12 Depth=1
	v_mov_b32_e32 v28, 0
.LBB3_36:                               ;   in Loop: Header=BB3_12 Depth=1
	v_mov_b32_e32 v14, s5
	v_add_co_u32_e32 v16, vcc, s4, v12
	v_addc_co_u32_e32 v17, vcc, v13, v14, vcc
	s_and_b64 vcc, exec, s[28:29]
	s_cbranch_vccz .LBB3_38
; %bb.37:                               ;   in Loop: Header=BB3_12 Depth=1
	v_mad_u64_u32 v[14:15], s[2:3], v16, s10, v[4:5]
	v_mul_lo_u32 v18, v16, s11
	v_mul_lo_u32 v19, v17, s10
	v_add3_u32 v15, v19, v15, v18
	s_cbranch_execz .LBB3_39
	s_branch .LBB3_40
.LBB3_38:                               ;   in Loop: Header=BB3_12 Depth=1
                                        ; implicit-def: $vgpr14_vgpr15
.LBB3_39:                               ;   in Loop: Header=BB3_12 Depth=1
	v_add_co_u32_e32 v14, vcc, v16, v6
	v_addc_co_u32_e32 v15, vcc, v17, v7, vcc
.LBB3_40:                               ;   in Loop: Header=BB3_12 Depth=1
	v_cmp_gt_i64_e32 vcc, s[30:31], v[12:13]
	s_and_b64 s[50:51], s[38:39], vcc
	s_and_saveexec_b64 s[2:3], s[50:51]
	s_cbranch_execz .LBB3_11
; %bb.41:                               ;   in Loop: Header=BB3_12 Depth=1
	s_and_b64 vcc, exec, s[40:41]
	v_lshlrev_b64 v[12:13], 2, v[14:15]
	v_mul_f32_e32 v14, s16, v28
	s_cbranch_vccz .LBB3_43
; %bb.42:                               ;   in Loop: Header=BB3_12 Depth=1
	v_mov_b32_e32 v15, s9
	v_add_co_u32_e32 v16, vcc, s8, v12
	v_addc_co_u32_e32 v17, vcc, v15, v13, vcc
	global_load_dword v15, v[16:17], off
	s_waitcnt vmcnt(0)
	v_fma_f32 v15, s34, v15, v14
	global_store_dword v[16:17], v15, off
	s_cbranch_execnz .LBB3_11
	s_branch .LBB3_44
.LBB3_43:                               ;   in Loop: Header=BB3_12 Depth=1
.LBB3_44:                               ;   in Loop: Header=BB3_12 Depth=1
	v_mov_b32_e32 v15, s9
	v_add_co_u32_e32 v12, vcc, s8, v12
	v_addc_co_u32_e32 v13, vcc, v15, v13, vcc
	global_store_dword v[12:13], v14, off
	s_branch .LBB3_11
.LBB3_45:
	s_endpgm
.LBB3_46:
                                        ; implicit-def: $sgpr36_sgpr37
	s_branch .LBB3_8
	.section	.rodata,"a",@progbits
	.p2align	6, 0x0
	.amdhsa_kernel _ZN9rocsparseL30bellmm_general_blockdim_kernelILi32ELi32EflfffEEv20rocsparse_operation_S1_20rocsparse_direction_T2_S3_NS_24const_host_device_scalarIT1_EES3_S3_PKS3_PKT3_PKT4_l16rocsparse_order_S6_PT5_lSF_21rocsparse_index_base_b
		.amdhsa_group_segment_fixed_size 8192
		.amdhsa_private_segment_fixed_size 0
		.amdhsa_kernarg_size 132
		.amdhsa_user_sgpr_count 6
		.amdhsa_user_sgpr_private_segment_buffer 1
		.amdhsa_user_sgpr_dispatch_ptr 0
		.amdhsa_user_sgpr_queue_ptr 0
		.amdhsa_user_sgpr_kernarg_segment_ptr 1
		.amdhsa_user_sgpr_dispatch_id 0
		.amdhsa_user_sgpr_flat_scratch_init 0
		.amdhsa_user_sgpr_kernarg_preload_length 0
		.amdhsa_user_sgpr_kernarg_preload_offset 0
		.amdhsa_user_sgpr_private_segment_size 0
		.amdhsa_uses_dynamic_stack 0
		.amdhsa_system_sgpr_private_segment_wavefront_offset 0
		.amdhsa_system_sgpr_workgroup_id_x 1
		.amdhsa_system_sgpr_workgroup_id_y 1
		.amdhsa_system_sgpr_workgroup_id_z 0
		.amdhsa_system_sgpr_workgroup_info 0
		.amdhsa_system_vgpr_workitem_id 1
		.amdhsa_next_free_vgpr 52
		.amdhsa_next_free_sgpr 68
		.amdhsa_accum_offset 52
		.amdhsa_reserve_vcc 1
		.amdhsa_reserve_flat_scratch 0
		.amdhsa_float_round_mode_32 0
		.amdhsa_float_round_mode_16_64 0
		.amdhsa_float_denorm_mode_32 3
		.amdhsa_float_denorm_mode_16_64 3
		.amdhsa_dx10_clamp 1
		.amdhsa_ieee_mode 1
		.amdhsa_fp16_overflow 0
		.amdhsa_tg_split 0
		.amdhsa_exception_fp_ieee_invalid_op 0
		.amdhsa_exception_fp_denorm_src 0
		.amdhsa_exception_fp_ieee_div_zero 0
		.amdhsa_exception_fp_ieee_overflow 0
		.amdhsa_exception_fp_ieee_underflow 0
		.amdhsa_exception_fp_ieee_inexact 0
		.amdhsa_exception_int_div_zero 0
	.end_amdhsa_kernel
	.section	.text._ZN9rocsparseL30bellmm_general_blockdim_kernelILi32ELi32EflfffEEv20rocsparse_operation_S1_20rocsparse_direction_T2_S3_NS_24const_host_device_scalarIT1_EES3_S3_PKS3_PKT3_PKT4_l16rocsparse_order_S6_PT5_lSF_21rocsparse_index_base_b,"axG",@progbits,_ZN9rocsparseL30bellmm_general_blockdim_kernelILi32ELi32EflfffEEv20rocsparse_operation_S1_20rocsparse_direction_T2_S3_NS_24const_host_device_scalarIT1_EES3_S3_PKS3_PKT3_PKT4_l16rocsparse_order_S6_PT5_lSF_21rocsparse_index_base_b,comdat
.Lfunc_end3:
	.size	_ZN9rocsparseL30bellmm_general_blockdim_kernelILi32ELi32EflfffEEv20rocsparse_operation_S1_20rocsparse_direction_T2_S3_NS_24const_host_device_scalarIT1_EES3_S3_PKS3_PKT3_PKT4_l16rocsparse_order_S6_PT5_lSF_21rocsparse_index_base_b, .Lfunc_end3-_ZN9rocsparseL30bellmm_general_blockdim_kernelILi32ELi32EflfffEEv20rocsparse_operation_S1_20rocsparse_direction_T2_S3_NS_24const_host_device_scalarIT1_EES3_S3_PKS3_PKT3_PKT4_l16rocsparse_order_S6_PT5_lSF_21rocsparse_index_base_b
                                        ; -- End function
	.section	.AMDGPU.csdata,"",@progbits
; Kernel info:
; codeLenInByte = 2636
; NumSgprs: 72
; NumVgprs: 52
; NumAgprs: 0
; TotalNumVgprs: 52
; ScratchSize: 0
; MemoryBound: 0
; FloatMode: 240
; IeeeMode: 1
; LDSByteSize: 8192 bytes/workgroup (compile time only)
; SGPRBlocks: 8
; VGPRBlocks: 6
; NumSGPRsForWavesPerEU: 72
; NumVGPRsForWavesPerEU: 52
; AccumOffset: 52
; Occupancy: 8
; WaveLimiterHint : 1
; COMPUTE_PGM_RSRC2:SCRATCH_EN: 0
; COMPUTE_PGM_RSRC2:USER_SGPR: 6
; COMPUTE_PGM_RSRC2:TRAP_HANDLER: 0
; COMPUTE_PGM_RSRC2:TGID_X_EN: 1
; COMPUTE_PGM_RSRC2:TGID_Y_EN: 1
; COMPUTE_PGM_RSRC2:TGID_Z_EN: 0
; COMPUTE_PGM_RSRC2:TIDIG_COMP_CNT: 1
; COMPUTE_PGM_RSRC3_GFX90A:ACCUM_OFFSET: 12
; COMPUTE_PGM_RSRC3_GFX90A:TG_SPLIT: 0
	.section	.text._ZN9rocsparseL30bellmm_general_blockdim_kernelILi32ELi32EdidddEEv20rocsparse_operation_S1_20rocsparse_direction_T2_S3_NS_24const_host_device_scalarIT1_EES3_S3_PKS3_PKT3_PKT4_l16rocsparse_order_S6_PT5_lSF_21rocsparse_index_base_b,"axG",@progbits,_ZN9rocsparseL30bellmm_general_blockdim_kernelILi32ELi32EdidddEEv20rocsparse_operation_S1_20rocsparse_direction_T2_S3_NS_24const_host_device_scalarIT1_EES3_S3_PKS3_PKT3_PKT4_l16rocsparse_order_S6_PT5_lSF_21rocsparse_index_base_b,comdat
	.globl	_ZN9rocsparseL30bellmm_general_blockdim_kernelILi32ELi32EdidddEEv20rocsparse_operation_S1_20rocsparse_direction_T2_S3_NS_24const_host_device_scalarIT1_EES3_S3_PKS3_PKT3_PKT4_l16rocsparse_order_S6_PT5_lSF_21rocsparse_index_base_b ; -- Begin function _ZN9rocsparseL30bellmm_general_blockdim_kernelILi32ELi32EdidddEEv20rocsparse_operation_S1_20rocsparse_direction_T2_S3_NS_24const_host_device_scalarIT1_EES3_S3_PKS3_PKT3_PKT4_l16rocsparse_order_S6_PT5_lSF_21rocsparse_index_base_b
	.p2align	8
	.type	_ZN9rocsparseL30bellmm_general_blockdim_kernelILi32ELi32EdidddEEv20rocsparse_operation_S1_20rocsparse_direction_T2_S3_NS_24const_host_device_scalarIT1_EES3_S3_PKS3_PKT3_PKT4_l16rocsparse_order_S6_PT5_lSF_21rocsparse_index_base_b,@function
_ZN9rocsparseL30bellmm_general_blockdim_kernelILi32ELi32EdidddEEv20rocsparse_operation_S1_20rocsparse_direction_T2_S3_NS_24const_host_device_scalarIT1_EES3_S3_PKS3_PKT3_PKT4_l16rocsparse_order_S6_PT5_lSF_21rocsparse_index_base_b: ; @_ZN9rocsparseL30bellmm_general_blockdim_kernelILi32ELi32EdidddEEv20rocsparse_operation_S1_20rocsparse_direction_T2_S3_NS_24const_host_device_scalarIT1_EES3_S3_PKS3_PKT3_PKT4_l16rocsparse_order_S6_PT5_lSF_21rocsparse_index_base_b
; %bb.0:
	s_load_dwordx4 s[20:23], s[4:5], 0x68
	s_load_dwordx2 s[8:9], s[4:5], 0x18
	s_load_dwordx2 s[0:1], s[4:5], 0x50
	s_waitcnt lgkmcnt(0)
	s_bitcmp1_b32 s22, 0
	s_cselect_b64 s[10:11], -1, 0
	s_xor_b64 s[2:3], s[10:11], -1
	s_and_b64 vcc, exec, s[10:11]
	v_pk_mov_b32 v[2:3], s[8:9], s[8:9] op_sel:[0,1]
	s_cbranch_vccnz .LBB4_2
; %bb.1:
	v_pk_mov_b32 v[2:3], s[8:9], s[8:9] op_sel:[0,1]
	flat_load_dwordx2 v[2:3], v[2:3]
.LBB4_2:
	s_andn2_b64 vcc, exec, s[2:3]
	v_pk_mov_b32 v[4:5], s[0:1], s[0:1] op_sel:[0,1]
	s_cbranch_vccnz .LBB4_4
; %bb.3:
	v_pk_mov_b32 v[4:5], s[0:1], s[0:1] op_sel:[0,1]
	flat_load_dwordx2 v[4:5], v[4:5]
.LBB4_4:
	s_waitcnt vmcnt(0) lgkmcnt(0)
	v_cmp_neq_f64_e32 vcc, 0, v[2:3]
	v_cmp_neq_f64_e64 s[0:1], 1.0, v[4:5]
	s_or_b64 s[0:1], vcc, s[0:1]
	s_and_saveexec_b64 s[2:3], s[0:1]
	s_cbranch_execz .LBB4_47
; %bb.5:
	s_load_dwordx4 s[8:11], s[4:5], 0x4
	s_load_dwordx2 s[22:23], s[4:5], 0x20
	s_mov_b32 s33, 0
	s_waitcnt lgkmcnt(0)
	s_cmp_lt_i32 s6, s10
	s_cselect_b64 s[2:3], -1, 0
	s_cmp_ge_i32 s6, s10
	s_cbranch_scc1 .LBB4_7
; %bb.6:
	s_abs_i32 s0, s23
	v_cvt_f32_u32_e32 v1, s0
	s_sub_i32 s13, 0, s0
	s_abs_i32 s12, s22
	s_xor_b32 s1, s22, s23
	v_rcp_iflag_f32_e32 v1, v1
	s_ashr_i32 s1, s1, 31
	v_mul_f32_e32 v1, 0x4f7ffffe, v1
	v_cvt_u32_f32_e32 v1, v1
	v_readfirstlane_b32 s14, v1
	s_mul_i32 s13, s13, s14
	s_mul_hi_u32 s13, s14, s13
	s_add_i32 s14, s14, s13
	s_mul_hi_u32 s13, s12, s14
	s_mul_i32 s14, s13, s0
	s_sub_i32 s12, s12, s14
	s_add_i32 s15, s13, 1
	s_sub_i32 s14, s12, s0
	s_cmp_ge_u32 s12, s0
	s_cselect_b32 s13, s15, s13
	s_cselect_b32 s12, s14, s12
	s_add_i32 s14, s13, 1
	s_cmp_ge_u32 s12, s0
	s_cselect_b32 s0, s14, s13
	s_xor_b32 s0, s0, s1
	s_sub_i32 s33, s0, s1
.LBB4_7:
	s_cmp_lt_i32 s23, 1
	s_cbranch_scc1 .LBB4_47
; %bb.8:
	s_load_dwordx8 s[12:19], s[4:5], 0x28
	v_bfe_u32 v6, v0, 10, 10
	v_lshl_add_u32 v8, s7, 5, v6
	v_ashrrev_i32_e32 v9, 31, v8
	s_load_dwordx4 s[24:27], s[4:5], 0x58
	s_load_dword s28, s[4:5], 0x48
	v_and_b32_e32 v7, 0x3ff, v0
	s_waitcnt lgkmcnt(0)
	v_mul_lo_u32 v10, v9, s18
	v_mul_lo_u32 v11, v8, s19
	v_mad_u64_u32 v[0:1], s[0:1], v8, s18, 0
	v_add3_u32 v1, v1, v11, v10
	v_lshlrev_b64 v[10:11], 3, v[8:9]
	s_cmp_gt_i32 s33, 0
	v_mov_b32_e32 v12, s17
	v_add_co_u32_e32 v22, vcc, s16, v10
	s_cselect_b64 s[4:5], -1, 0
	v_addc_co_u32_e32 v23, vcc, v12, v11, vcc
	s_cmpk_eq_i32 s8, 0x6f
	v_lshlrev_b64 v[0:1], 3, v[0:1]
	s_cselect_b64 s[34:35], -1, 0
	s_cmp_lg_u32 s28, 1
	v_lshlrev_b32_e32 v10, 5, v6
	v_add_co_u32_e32 v26, vcc, s16, v0
	s_cselect_b64 s[36:37], -1, 0
	v_add_lshl_u32 v24, v10, v7, 3
	v_addc_co_u32_e32 v27, vcc, v12, v1, vcc
	s_cmp_lg_u32 s9, 0
	v_mul_lo_u32 v10, v9, s26
	v_mul_lo_u32 v11, v8, s27
	v_mad_u64_u32 v[0:1], s[8:9], v8, s26, 0
	s_mul_i32 s7, s6, s23
	s_cselect_b64 s[16:17], -1, 0
	s_cmp_lg_u32 s20, 1
	v_add3_u32 v1, v1, v11, v10
	v_mov_b32_e32 v10, 0x2000
	s_cselect_b64 s[28:29], -1, 0
	s_xor_b64 s[8:9], s[34:35], s[36:37]
	v_lshl_add_u32 v29, v6, 8, v10
	v_add_u32_e32 v10, s7, v7
	s_xor_b64 s[34:35], s[8:9], -1
	v_mad_u64_u32 v[10:11], s[8:9], s23, v10, v[6:7]
	v_cmp_gt_i32_e64 s[0:1], s11, v8
	s_mul_i32 s20, s23, s23
	v_cndmask_b32_e64 v11, 0, 1, s[4:5]
	s_mov_b32 s22, 0
	v_add_u32_e32 v25, 0x2000, v24
	s_and_b64 s[30:31], s[2:3], s[0:1]
	v_cmp_neq_f64_e64 s[2:3], 0, v[4:5]
	v_lshlrev_b32_e32 v28, 3, v7
	s_lshl_b32 s11, s23, 5
	s_mul_i32 s20, s20, s10
	v_cmp_ne_u32_e64 s[4:5], 1, v11
	v_mov_b32_e32 v13, 0
	s_branch .LBB4_10
.LBB4_9:                                ;   in Loop: Header=BB4_10 Depth=1
	s_or_b64 exec, exec, s[8:9]
	s_add_i32 s22, s22, 32
	s_cmp_lt_i32 s22, s23
	v_add_u32_e32 v10, s11, v10
	s_cbranch_scc0 .LBB4_47
.LBB4_10:                               ; =>This Loop Header: Depth=1
                                        ;     Child Loop BB4_13 Depth 2
                                        ;       Child Loop BB4_15 Depth 3
	v_add_u32_e32 v16, s22, v7
	s_and_b64 vcc, exec, s[4:5]
	v_cmp_gt_i32_e64 s[8:9], s23, v16
	s_cbranch_vccnz .LBB4_37
; %bb.11:                               ;   in Loop: Header=BB4_10 Depth=1
	s_mov_b32 s46, 0
	v_pk_mov_b32 v[14:15], 0, 0
	v_mov_b32_e32 v11, v10
	s_branch .LBB4_13
.LBB4_12:                               ;   in Loop: Header=BB4_13 Depth=2
	s_add_i32 s46, s46, 1
	s_cmp_eq_u32 s46, s33
	v_add_u32_e32 v11, s20, v11
	s_cbranch_scc1 .LBB4_38
.LBB4_13:                               ;   Parent Loop BB4_10 Depth=1
                                        ; =>  This Loop Header: Depth=2
                                        ;       Child Loop BB4_15 Depth 3
	s_mul_i32 s36, s46, s10
	s_add_i32 s36, s36, s6
	s_ashr_i32 s37, s36, 31
	s_lshl_b64 s[38:39], s[36:37], 2
	s_add_u32 s38, s12, s38
	s_addc_u32 s39, s13, s39
	s_load_dword s37, s[38:39], 0x0
	s_mul_i32 s47, s36, s23
	s_mov_b32 s48, 0
	s_waitcnt lgkmcnt(0)
	s_sub_i32 s36, s37, s21
	s_cmp_gt_i32 s36, -1
	s_mul_i32 s38, s36, s23
	s_cselect_b64 s[36:37], -1, 0
	v_add_u32_e32 v17, s38, v7
	s_branch .LBB4_15
.LBB4_14:                               ;   in Loop: Header=BB4_15 Depth=3
	s_add_i32 s48, s48, 32
	s_cmp_ge_i32 s48, s23
	s_barrier
	s_cbranch_scc1 .LBB4_12
.LBB4_15:                               ;   Parent Loop BB4_10 Depth=1
                                        ;     Parent Loop BB4_13 Depth=2
                                        ; =>    This Inner Loop Header: Depth=3
	v_add_u32_e32 v12, s48, v7
	v_cmp_gt_i32_e32 vcc, s23, v12
	s_and_b64 s[38:39], s[0:1], vcc
	s_and_b64 s[42:43], s[38:39], s[36:37]
	s_and_b64 vcc, exec, s[34:35]
	s_cbranch_vccz .LBB4_19
; %bb.16:                               ;   in Loop: Header=BB4_15 Depth=3
	s_mov_b64 s[40:41], 0
	s_mov_b64 s[38:39], 0
                                        ; implicit-def: $vgpr18_vgpr19
	s_and_saveexec_b64 s[44:45], s[42:43]
	s_xor_b64 s[44:45], exec, s[44:45]
; %bb.17:                               ;   in Loop: Header=BB4_15 Depth=3
	v_add_u32_e32 v20, s48, v17
	v_mad_u64_u32 v[18:19], s[50:51], v20, s18, 0
	v_mov_b32_e32 v12, v19
	v_mad_u64_u32 v[20:21], s[50:51], v20, s19, v[12:13]
	v_mov_b32_e32 v19, v20
	v_lshlrev_b64 v[18:19], 3, v[18:19]
	v_add_co_u32_e32 v18, vcc, v22, v18
	s_mov_b64 s[38:39], exec
	v_addc_co_u32_e32 v19, vcc, v23, v19, vcc
; %bb.18:                               ;   in Loop: Header=BB4_15 Depth=3
	s_or_b64 exec, exec, s[44:45]
	s_and_b64 vcc, exec, s[40:41]
	s_cbranch_vccnz .LBB4_20
	s_branch .LBB4_23
.LBB4_19:                               ;   in Loop: Header=BB4_15 Depth=3
	s_mov_b64 s[40:41], -1
	s_mov_b64 s[38:39], 0
                                        ; implicit-def: $vgpr18_vgpr19
	s_cbranch_execz .LBB4_23
.LBB4_20:                               ;   in Loop: Header=BB4_15 Depth=3
                                        ; implicit-def: $vgpr18_vgpr19
	s_and_saveexec_b64 s[40:41], s[42:43]
; %bb.21:                               ;   in Loop: Header=BB4_15 Depth=3
	v_add_u32_e32 v12, s48, v17
	v_lshlrev_b64 v[18:19], 3, v[12:13]
	v_add_co_u32_e32 v18, vcc, v26, v18
	v_addc_co_u32_e32 v19, vcc, v27, v19, vcc
	s_or_b64 s[38:39], s[38:39], exec
; %bb.22:                               ;   in Loop: Header=BB4_15 Depth=3
	s_or_b64 exec, exec, s[40:41]
	s_mov_b64 s[40:41], 0
.LBB4_23:                               ;   in Loop: Header=BB4_15 Depth=3
	v_pk_mov_b32 v[20:21], s[40:41], s[40:41] op_sel:[0,1]
	s_and_saveexec_b64 s[40:41], s[38:39]
	s_cbranch_execz .LBB4_25
; %bb.24:                               ;   in Loop: Header=BB4_15 Depth=3
	global_load_dwordx2 v[20:21], v[18:19], off
.LBB4_25:                               ;   in Loop: Header=BB4_15 Depth=3
	s_or_b64 exec, exec, s[40:41]
	v_add_u32_e32 v12, s48, v6
	v_cmp_gt_i32_e32 vcc, s23, v12
	s_and_b64 s[38:39], s[8:9], vcc
	s_and_b64 s[42:43], s[38:39], s[36:37]
	s_and_b64 vcc, exec, s[16:17]
	s_waitcnt vmcnt(0)
	ds_write_b64 v25, v[20:21]
	s_cbranch_vccz .LBB4_33
; %bb.26:                               ;   in Loop: Header=BB4_15 Depth=3
	s_mov_b64 s[40:41], 0
	s_mov_b64 s[38:39], 0
                                        ; implicit-def: $vgpr18
	s_and_saveexec_b64 s[44:45], s[42:43]
	s_xor_b64 s[44:45], exec, s[44:45]
; %bb.27:                               ;   in Loop: Header=BB4_15 Depth=3
	v_add_u32_e32 v12, s47, v12
	s_mov_b64 s[38:39], exec
	v_mad_u64_u32 v[18:19], s[50:51], v12, s23, v[16:17]
; %bb.28:                               ;   in Loop: Header=BB4_15 Depth=3
	s_or_b64 exec, exec, s[44:45]
	s_and_b64 vcc, exec, s[40:41]
	s_cbranch_vccnz .LBB4_34
.LBB4_29:                               ;   in Loop: Header=BB4_15 Depth=3
	v_pk_mov_b32 v[20:21], s[40:41], s[40:41] op_sel:[0,1]
	s_and_saveexec_b64 s[40:41], s[38:39]
	s_cbranch_execz .LBB4_31
.LBB4_30:                               ;   in Loop: Header=BB4_15 Depth=3
	v_ashrrev_i32_e32 v19, 31, v18
	v_lshlrev_b64 v[18:19], 3, v[18:19]
	v_mov_b32_e32 v12, s15
	v_add_co_u32_e32 v18, vcc, s14, v18
	v_addc_co_u32_e32 v19, vcc, v12, v19, vcc
	global_load_dwordx2 v[20:21], v[18:19], off
.LBB4_31:                               ;   in Loop: Header=BB4_15 Depth=3
	s_or_b64 exec, exec, s[40:41]
	s_andn2_b64 vcc, exec, s[36:37]
	s_waitcnt vmcnt(0)
	ds_write_b64 v24, v[20:21]
	s_waitcnt lgkmcnt(0)
	s_barrier
	s_cbranch_vccnz .LBB4_14
; %bb.32:                               ;   in Loop: Header=BB4_15 Depth=3
	ds_read2_b64 v[18:21], v28 offset1:32
	ds_read_b128 v[30:33], v29
	ds_read_b128 v[34:37], v29 offset:16
	ds_read2_b64 v[38:41], v28 offset0:64 offset1:96
	ds_read_b128 v[42:45], v29 offset:32
	ds_read_b128 v[46:49], v29 offset:48
	ds_read2_b64 v[50:53], v28 offset0:128 offset1:160
	s_waitcnt lgkmcnt(5)
	v_fmac_f64_e32 v[14:15], v[18:19], v[30:31]
	v_fmac_f64_e32 v[14:15], v[20:21], v[32:33]
	ds_read2_b64 v[18:21], v28 offset0:192 offset1:224
	s_waitcnt lgkmcnt(4)
	v_fmac_f64_e32 v[14:15], v[38:39], v[34:35]
	v_fmac_f64_e32 v[14:15], v[40:41], v[36:37]
	s_waitcnt lgkmcnt(1)
	v_fmac_f64_e32 v[14:15], v[50:51], v[42:43]
	v_add_u32_e32 v12, 0x800, v28
	v_fmac_f64_e32 v[14:15], v[52:53], v[44:45]
	ds_read2_b64 v[30:33], v12 offset1:32
	ds_read_b128 v[34:37], v29 offset:64
	s_waitcnt lgkmcnt(2)
	v_fmac_f64_e32 v[14:15], v[18:19], v[46:47]
	v_fmac_f64_e32 v[14:15], v[20:21], v[48:49]
	ds_read2_b64 v[18:21], v12 offset0:64 offset1:96
	ds_read_b128 v[38:41], v29 offset:80
	ds_read2_b64 v[42:45], v12 offset0:128 offset1:160
	ds_read_b128 v[46:49], v29 offset:96
	s_waitcnt lgkmcnt(4)
	v_fmac_f64_e32 v[14:15], v[30:31], v[34:35]
	v_fmac_f64_e32 v[14:15], v[32:33], v[36:37]
	ds_read2_b64 v[30:33], v12 offset0:192 offset1:224
	s_waitcnt lgkmcnt(3)
	v_fmac_f64_e32 v[14:15], v[18:19], v[38:39]
	v_fmac_f64_e32 v[14:15], v[20:21], v[40:41]
	ds_read_b128 v[18:21], v29 offset:112
	s_waitcnt lgkmcnt(2)
	v_fmac_f64_e32 v[14:15], v[42:43], v[46:47]
	v_add_u32_e32 v12, 0x1000, v28
	v_fmac_f64_e32 v[14:15], v[44:45], v[48:49]
	ds_read2_b64 v[34:37], v12 offset1:32
	ds_read_b128 v[38:41], v29 offset:128
	s_waitcnt lgkmcnt(2)
	v_fmac_f64_e32 v[14:15], v[30:31], v[18:19]
	v_fmac_f64_e32 v[14:15], v[32:33], v[20:21]
	ds_read2_b64 v[18:21], v12 offset0:64 offset1:96
	ds_read_b128 v[30:33], v29 offset:144
	ds_read2_b64 v[42:45], v12 offset0:128 offset1:160
	ds_read_b128 v[46:49], v29 offset:160
	s_waitcnt lgkmcnt(4)
	v_fmac_f64_e32 v[14:15], v[34:35], v[38:39]
	v_fmac_f64_e32 v[14:15], v[36:37], v[40:41]
	s_waitcnt lgkmcnt(2)
	v_fmac_f64_e32 v[14:15], v[18:19], v[30:31]
	v_fmac_f64_e32 v[14:15], v[20:21], v[32:33]
	ds_read_b128 v[18:21], v29 offset:176
	ds_read2_b64 v[30:33], v12 offset0:192 offset1:224
	s_waitcnt lgkmcnt(2)
	v_fmac_f64_e32 v[14:15], v[42:43], v[46:47]
	v_add_u32_e32 v12, 0x1800, v28
	ds_read2_b64 v[34:37], v12 offset1:32
	ds_read_b128 v[38:41], v29 offset:192
	v_fmac_f64_e32 v[14:15], v[44:45], v[48:49]
	s_waitcnt lgkmcnt(2)
	v_fmac_f64_e32 v[14:15], v[30:31], v[18:19]
	v_fmac_f64_e32 v[14:15], v[32:33], v[20:21]
	ds_read_b128 v[18:21], v29 offset:208
	s_waitcnt lgkmcnt(1)
	v_fmac_f64_e32 v[14:15], v[34:35], v[38:39]
	v_fmac_f64_e32 v[14:15], v[36:37], v[40:41]
	ds_read2_b64 v[30:33], v12 offset0:64 offset1:96
	ds_read2_b64 v[34:37], v12 offset0:128 offset1:160
	ds_read_b128 v[38:41], v29 offset:224
	ds_read2_b64 v[42:45], v12 offset0:192 offset1:224
	ds_read_b128 v[46:49], v29 offset:240
	s_waitcnt lgkmcnt(4)
	v_fmac_f64_e32 v[14:15], v[30:31], v[18:19]
	v_fmac_f64_e32 v[14:15], v[32:33], v[20:21]
	s_waitcnt lgkmcnt(2)
	v_fmac_f64_e32 v[14:15], v[34:35], v[38:39]
	v_fmac_f64_e32 v[14:15], v[36:37], v[40:41]
	;; [unrolled: 3-line block ×3, first 2 shown]
	s_branch .LBB4_14
.LBB4_33:                               ;   in Loop: Header=BB4_15 Depth=3
	s_mov_b64 s[40:41], -1
	s_mov_b64 s[38:39], 0
                                        ; implicit-def: $vgpr18
	s_cbranch_execz .LBB4_29
.LBB4_34:                               ;   in Loop: Header=BB4_15 Depth=3
                                        ; implicit-def: $vgpr18
	s_and_saveexec_b64 s[40:41], s[42:43]
; %bb.35:                               ;   in Loop: Header=BB4_15 Depth=3
	v_add_u32_e32 v18, s48, v11
	s_or_b64 s[38:39], s[38:39], exec
; %bb.36:                               ;   in Loop: Header=BB4_15 Depth=3
	s_or_b64 exec, exec, s[40:41]
	s_mov_b64 s[40:41], 0
	v_pk_mov_b32 v[20:21], s[40:41], s[40:41] op_sel:[0,1]
	s_and_saveexec_b64 s[40:41], s[38:39]
	s_cbranch_execnz .LBB4_30
	s_branch .LBB4_31
.LBB4_37:                               ;   in Loop: Header=BB4_10 Depth=1
	v_pk_mov_b32 v[14:15], 0, 0
.LBB4_38:                               ;   in Loop: Header=BB4_10 Depth=1
	v_add_u32_e32 v11, s7, v16
	v_ashrrev_i32_e32 v12, 31, v11
	s_and_b64 vcc, exec, s[28:29]
	s_cbranch_vccz .LBB4_40
; %bb.39:                               ;   in Loop: Header=BB4_10 Depth=1
	v_mad_u64_u32 v[18:19], s[8:9], v11, s26, v[8:9]
	v_mul_lo_u32 v17, v11, s27
	v_mul_lo_u32 v20, v12, s26
	v_add3_u32 v19, v20, v19, v17
	s_cbranch_execz .LBB4_41
	s_branch .LBB4_42
.LBB4_40:                               ;   in Loop: Header=BB4_10 Depth=1
                                        ; implicit-def: $vgpr18_vgpr19
.LBB4_41:                               ;   in Loop: Header=BB4_10 Depth=1
	v_add_co_u32_e32 v18, vcc, v0, v11
	v_addc_co_u32_e32 v19, vcc, v1, v12, vcc
.LBB4_42:                               ;   in Loop: Header=BB4_10 Depth=1
	v_cmp_gt_i32_e32 vcc, s23, v16
	s_and_b64 s[36:37], s[30:31], vcc
	s_and_saveexec_b64 s[8:9], s[36:37]
	s_cbranch_execz .LBB4_9
; %bb.43:                               ;   in Loop: Header=BB4_10 Depth=1
	v_lshlrev_b64 v[16:17], 3, v[18:19]
	v_mul_f64 v[14:15], v[2:3], v[14:15]
	s_and_saveexec_b64 s[36:37], s[2:3]
	s_xor_b64 s[36:37], exec, s[36:37]
	s_cbranch_execz .LBB4_45
; %bb.44:                               ;   in Loop: Header=BB4_10 Depth=1
	v_mov_b32_e32 v11, s25
	v_add_co_u32_e32 v16, vcc, s24, v16
	v_addc_co_u32_e32 v17, vcc, v11, v17, vcc
	global_load_dwordx2 v[18:19], v[16:17], off
	s_waitcnt vmcnt(0)
	v_fmac_f64_e32 v[14:15], v[4:5], v[18:19]
	global_store_dwordx2 v[16:17], v[14:15], off
                                        ; implicit-def: $vgpr16_vgpr17
                                        ; implicit-def: $vgpr14_vgpr15
.LBB4_45:                               ;   in Loop: Header=BB4_10 Depth=1
	s_andn2_saveexec_b64 s[36:37], s[36:37]
	s_cbranch_execz .LBB4_9
; %bb.46:                               ;   in Loop: Header=BB4_10 Depth=1
	v_mov_b32_e32 v11, s25
	v_add_co_u32_e32 v16, vcc, s24, v16
	v_addc_co_u32_e32 v17, vcc, v11, v17, vcc
	global_store_dwordx2 v[16:17], v[14:15], off
	s_branch .LBB4_9
.LBB4_47:
	s_endpgm
	.section	.rodata,"a",@progbits
	.p2align	6, 0x0
	.amdhsa_kernel _ZN9rocsparseL30bellmm_general_blockdim_kernelILi32ELi32EdidddEEv20rocsparse_operation_S1_20rocsparse_direction_T2_S3_NS_24const_host_device_scalarIT1_EES3_S3_PKS3_PKT3_PKT4_l16rocsparse_order_S6_PT5_lSF_21rocsparse_index_base_b
		.amdhsa_group_segment_fixed_size 16384
		.amdhsa_private_segment_fixed_size 0
		.amdhsa_kernarg_size 116
		.amdhsa_user_sgpr_count 6
		.amdhsa_user_sgpr_private_segment_buffer 1
		.amdhsa_user_sgpr_dispatch_ptr 0
		.amdhsa_user_sgpr_queue_ptr 0
		.amdhsa_user_sgpr_kernarg_segment_ptr 1
		.amdhsa_user_sgpr_dispatch_id 0
		.amdhsa_user_sgpr_flat_scratch_init 0
		.amdhsa_user_sgpr_kernarg_preload_length 0
		.amdhsa_user_sgpr_kernarg_preload_offset 0
		.amdhsa_user_sgpr_private_segment_size 0
		.amdhsa_uses_dynamic_stack 0
		.amdhsa_system_sgpr_private_segment_wavefront_offset 0
		.amdhsa_system_sgpr_workgroup_id_x 1
		.amdhsa_system_sgpr_workgroup_id_y 1
		.amdhsa_system_sgpr_workgroup_id_z 0
		.amdhsa_system_sgpr_workgroup_info 0
		.amdhsa_system_vgpr_workitem_id 1
		.amdhsa_next_free_vgpr 54
		.amdhsa_next_free_sgpr 52
		.amdhsa_accum_offset 56
		.amdhsa_reserve_vcc 1
		.amdhsa_reserve_flat_scratch 0
		.amdhsa_float_round_mode_32 0
		.amdhsa_float_round_mode_16_64 0
		.amdhsa_float_denorm_mode_32 3
		.amdhsa_float_denorm_mode_16_64 3
		.amdhsa_dx10_clamp 1
		.amdhsa_ieee_mode 1
		.amdhsa_fp16_overflow 0
		.amdhsa_tg_split 0
		.amdhsa_exception_fp_ieee_invalid_op 0
		.amdhsa_exception_fp_denorm_src 0
		.amdhsa_exception_fp_ieee_div_zero 0
		.amdhsa_exception_fp_ieee_overflow 0
		.amdhsa_exception_fp_ieee_underflow 0
		.amdhsa_exception_fp_ieee_inexact 0
		.amdhsa_exception_int_div_zero 0
	.end_amdhsa_kernel
	.section	.text._ZN9rocsparseL30bellmm_general_blockdim_kernelILi32ELi32EdidddEEv20rocsparse_operation_S1_20rocsparse_direction_T2_S3_NS_24const_host_device_scalarIT1_EES3_S3_PKS3_PKT3_PKT4_l16rocsparse_order_S6_PT5_lSF_21rocsparse_index_base_b,"axG",@progbits,_ZN9rocsparseL30bellmm_general_blockdim_kernelILi32ELi32EdidddEEv20rocsparse_operation_S1_20rocsparse_direction_T2_S3_NS_24const_host_device_scalarIT1_EES3_S3_PKS3_PKT3_PKT4_l16rocsparse_order_S6_PT5_lSF_21rocsparse_index_base_b,comdat
.Lfunc_end4:
	.size	_ZN9rocsparseL30bellmm_general_blockdim_kernelILi32ELi32EdidddEEv20rocsparse_operation_S1_20rocsparse_direction_T2_S3_NS_24const_host_device_scalarIT1_EES3_S3_PKS3_PKT3_PKT4_l16rocsparse_order_S6_PT5_lSF_21rocsparse_index_base_b, .Lfunc_end4-_ZN9rocsparseL30bellmm_general_blockdim_kernelILi32ELi32EdidddEEv20rocsparse_operation_S1_20rocsparse_direction_T2_S3_NS_24const_host_device_scalarIT1_EES3_S3_PKS3_PKT3_PKT4_l16rocsparse_order_S6_PT5_lSF_21rocsparse_index_base_b
                                        ; -- End function
	.section	.AMDGPU.csdata,"",@progbits
; Kernel info:
; codeLenInByte = 1824
; NumSgprs: 56
; NumVgprs: 54
; NumAgprs: 0
; TotalNumVgprs: 54
; ScratchSize: 0
; MemoryBound: 0
; FloatMode: 240
; IeeeMode: 1
; LDSByteSize: 16384 bytes/workgroup (compile time only)
; SGPRBlocks: 6
; VGPRBlocks: 6
; NumSGPRsForWavesPerEU: 56
; NumVGPRsForWavesPerEU: 54
; AccumOffset: 56
; Occupancy: 8
; WaveLimiterHint : 1
; COMPUTE_PGM_RSRC2:SCRATCH_EN: 0
; COMPUTE_PGM_RSRC2:USER_SGPR: 6
; COMPUTE_PGM_RSRC2:TRAP_HANDLER: 0
; COMPUTE_PGM_RSRC2:TGID_X_EN: 1
; COMPUTE_PGM_RSRC2:TGID_Y_EN: 1
; COMPUTE_PGM_RSRC2:TGID_Z_EN: 0
; COMPUTE_PGM_RSRC2:TIDIG_COMP_CNT: 1
; COMPUTE_PGM_RSRC3_GFX90A:ACCUM_OFFSET: 13
; COMPUTE_PGM_RSRC3_GFX90A:TG_SPLIT: 0
	.section	.text._ZN9rocsparseL30bellmm_general_blockdim_kernelILi32ELi32EdldddEEv20rocsparse_operation_S1_20rocsparse_direction_T2_S3_NS_24const_host_device_scalarIT1_EES3_S3_PKS3_PKT3_PKT4_l16rocsparse_order_S6_PT5_lSF_21rocsparse_index_base_b,"axG",@progbits,_ZN9rocsparseL30bellmm_general_blockdim_kernelILi32ELi32EdldddEEv20rocsparse_operation_S1_20rocsparse_direction_T2_S3_NS_24const_host_device_scalarIT1_EES3_S3_PKS3_PKT3_PKT4_l16rocsparse_order_S6_PT5_lSF_21rocsparse_index_base_b,comdat
	.globl	_ZN9rocsparseL30bellmm_general_blockdim_kernelILi32ELi32EdldddEEv20rocsparse_operation_S1_20rocsparse_direction_T2_S3_NS_24const_host_device_scalarIT1_EES3_S3_PKS3_PKT3_PKT4_l16rocsparse_order_S6_PT5_lSF_21rocsparse_index_base_b ; -- Begin function _ZN9rocsparseL30bellmm_general_blockdim_kernelILi32ELi32EdldddEEv20rocsparse_operation_S1_20rocsparse_direction_T2_S3_NS_24const_host_device_scalarIT1_EES3_S3_PKS3_PKT3_PKT4_l16rocsparse_order_S6_PT5_lSF_21rocsparse_index_base_b
	.p2align	8
	.type	_ZN9rocsparseL30bellmm_general_blockdim_kernelILi32ELi32EdldddEEv20rocsparse_operation_S1_20rocsparse_direction_T2_S3_NS_24const_host_device_scalarIT1_EES3_S3_PKS3_PKT3_PKT4_l16rocsparse_order_S6_PT5_lSF_21rocsparse_index_base_b,@function
_ZN9rocsparseL30bellmm_general_blockdim_kernelILi32ELi32EdldddEEv20rocsparse_operation_S1_20rocsparse_direction_T2_S3_NS_24const_host_device_scalarIT1_EES3_S3_PKS3_PKT3_PKT4_l16rocsparse_order_S6_PT5_lSF_21rocsparse_index_base_b: ; @_ZN9rocsparseL30bellmm_general_blockdim_kernelILi32ELi32EdldddEEv20rocsparse_operation_S1_20rocsparse_direction_T2_S3_NS_24const_host_device_scalarIT1_EES3_S3_PKS3_PKT3_PKT4_l16rocsparse_order_S6_PT5_lSF_21rocsparse_index_base_b
; %bb.0:
	s_load_dwordx4 s[24:27], s[4:5], 0x78
	s_load_dwordx8 s[12:19], s[4:5], 0x10
	s_load_dwordx2 s[2:3], s[4:5], 0x60
	s_mov_b32 s0, s7
	s_waitcnt lgkmcnt(0)
	s_bitcmp1_b32 s26, 0
	s_cselect_b64 s[10:11], -1, 0
	s_xor_b64 s[8:9], s[10:11], -1
	s_and_b64 vcc, exec, s[10:11]
	v_pk_mov_b32 v[2:3], s[16:17], s[16:17] op_sel:[0,1]
	s_cbranch_vccnz .LBB5_2
; %bb.1:
	v_pk_mov_b32 v[2:3], s[16:17], s[16:17] op_sel:[0,1]
	flat_load_dwordx2 v[2:3], v[2:3]
.LBB5_2:
	s_andn2_b64 vcc, exec, s[8:9]
	v_pk_mov_b32 v[4:5], s[2:3], s[2:3] op_sel:[0,1]
	s_cbranch_vccnz .LBB5_4
; %bb.3:
	v_pk_mov_b32 v[4:5], s[2:3], s[2:3] op_sel:[0,1]
	flat_load_dwordx2 v[4:5], v[4:5]
.LBB5_4:
	s_waitcnt vmcnt(0) lgkmcnt(0)
	v_cmp_neq_f64_e32 vcc, 0, v[2:3]
	v_cmp_neq_f64_e64 s[2:3], 1.0, v[4:5]
	s_mov_b64 s[28:29], 0
	s_or_b64 s[2:3], vcc, s[2:3]
	s_and_saveexec_b64 s[8:9], s[2:3]
	s_cbranch_execz .LBB5_45
; %bb.5:
	s_load_dwordx2 s[26:27], s[4:5], 0x30
	s_mov_b32 s7, 0
	v_pk_mov_b32 v[6:7], s[12:13], s[12:13] op_sel:[0,1]
	v_cmp_ge_i64_e32 vcc, s[6:7], v[6:7]
	v_cmp_lt_i64_e64 s[2:3], s[6:7], v[6:7]
	s_cbranch_vccnz .LBB5_9
; %bb.6:
	s_waitcnt lgkmcnt(0)
	s_or_b64 s[8:9], s[18:19], s[26:27]
	s_mov_b32 s8, s7
	s_cmp_lg_u64 s[8:9], 0
	s_cbranch_scc0 .LBB5_46
; %bb.7:
	s_ashr_i32 s10, s27, 31
	s_add_u32 s8, s26, s10
	s_mov_b32 s11, s10
	s_addc_u32 s9, s27, s10
	s_xor_b64 s[20:21], s[8:9], s[10:11]
	v_cvt_f32_u32_e32 v1, s20
	v_cvt_f32_u32_e32 v6, s21
	s_sub_u32 s1, 0, s20
	s_subb_u32 s7, 0, s21
	v_madmk_f32 v1, v6, 0x4f800000, v1
	v_rcp_f32_e32 v1, v1
	v_mul_f32_e32 v1, 0x5f7ffffc, v1
	v_mul_f32_e32 v6, 0x2f800000, v1
	v_trunc_f32_e32 v6, v6
	v_madmk_f32 v1, v6, 0xcf800000, v1
	v_cvt_u32_f32_e32 v6, v6
	v_cvt_u32_f32_e32 v1, v1
	v_readfirstlane_b32 s8, v6
	v_readfirstlane_b32 s9, v1
	s_mul_i32 s22, s1, s8
	s_mul_hi_u32 s28, s1, s9
	s_mul_i32 s23, s7, s9
	s_add_i32 s22, s28, s22
	s_add_i32 s22, s22, s23
	s_mul_i32 s29, s1, s9
	s_mul_hi_u32 s23, s9, s22
	s_mul_i32 s28, s9, s22
	s_mul_hi_u32 s9, s9, s29
	s_add_u32 s9, s9, s28
	s_addc_u32 s23, 0, s23
	s_mul_hi_u32 s30, s8, s29
	s_mul_i32 s29, s8, s29
	s_add_u32 s9, s9, s29
	s_mul_hi_u32 s28, s8, s22
	s_addc_u32 s9, s23, s30
	s_addc_u32 s23, s28, 0
	s_mul_i32 s22, s8, s22
	s_add_u32 s9, s9, s22
	s_addc_u32 s22, 0, s23
	v_add_co_u32_e32 v1, vcc, s9, v1
	s_cmp_lg_u64 vcc, 0
	s_addc_u32 s8, s8, s22
	v_readfirstlane_b32 s22, v1
	s_mul_i32 s9, s1, s8
	s_mul_hi_u32 s23, s1, s22
	s_add_i32 s9, s23, s9
	s_mul_i32 s7, s7, s22
	s_add_i32 s9, s9, s7
	s_mul_i32 s1, s1, s22
	s_mul_hi_u32 s23, s8, s1
	s_mul_i32 s28, s8, s1
	s_mul_i32 s30, s22, s9
	s_mul_hi_u32 s1, s22, s1
	s_mul_hi_u32 s29, s22, s9
	s_add_u32 s1, s1, s30
	s_addc_u32 s22, 0, s29
	s_add_u32 s1, s1, s28
	s_mul_hi_u32 s7, s8, s9
	s_addc_u32 s1, s22, s23
	s_addc_u32 s7, s7, 0
	s_mul_i32 s9, s8, s9
	s_add_u32 s1, s1, s9
	s_addc_u32 s7, 0, s7
	v_add_co_u32_e32 v1, vcc, s1, v1
	s_cmp_lg_u64 vcc, 0
	s_addc_u32 s1, s8, s7
	s_ashr_i32 s22, s19, 31
	s_add_u32 s8, s18, s22
	s_mov_b32 s23, s22
	s_addc_u32 s9, s19, s22
	s_xor_b64 s[28:29], s[8:9], s[22:23]
	v_readfirstlane_b32 s9, v1
	s_mul_i32 s8, s28, s1
	s_mul_hi_u32 s19, s28, s9
	s_mul_hi_u32 s7, s28, s1
	s_add_u32 s8, s19, s8
	s_addc_u32 s7, 0, s7
	s_mul_hi_u32 s30, s29, s9
	s_mul_i32 s9, s29, s9
	s_add_u32 s8, s8, s9
	s_mul_hi_u32 s19, s29, s1
	s_addc_u32 s7, s7, s30
	s_addc_u32 s8, s19, 0
	s_mul_i32 s1, s29, s1
	s_add_u32 s1, s7, s1
	s_addc_u32 s7, 0, s8
	s_mul_i32 s8, s20, s7
	s_mul_hi_u32 s9, s20, s1
	s_add_i32 s8, s9, s8
	s_mul_i32 s9, s21, s1
	s_add_i32 s19, s8, s9
	s_mul_i32 s9, s20, s1
	v_mov_b32_e32 v1, s9
	s_sub_i32 s8, s29, s19
	v_sub_co_u32_e32 v1, vcc, s28, v1
	s_cmp_lg_u64 vcc, 0
	s_subb_u32 s28, s8, s21
	v_subrev_co_u32_e64 v6, s[8:9], s20, v1
	s_cmp_lg_u64 s[8:9], 0
	s_subb_u32 s8, s28, 0
	s_cmp_ge_u32 s8, s21
	v_readfirstlane_b32 s28, v6
	s_cselect_b32 s9, -1, 0
	s_cmp_ge_u32 s28, s20
	s_cselect_b32 s28, -1, 0
	s_cmp_eq_u32 s8, s21
	s_cselect_b32 s8, s28, s9
	s_add_u32 s9, s1, 1
	s_addc_u32 s28, s7, 0
	s_add_u32 s30, s1, 2
	s_addc_u32 s31, s7, 0
	s_cmp_lg_u32 s8, 0
	s_cselect_b32 s8, s30, s9
	s_cselect_b32 s9, s31, s28
	s_cmp_lg_u64 vcc, 0
	s_subb_u32 s19, s29, s19
	s_cmp_ge_u32 s19, s21
	v_readfirstlane_b32 s29, v1
	s_cselect_b32 s28, -1, 0
	s_cmp_ge_u32 s29, s20
	s_cselect_b32 s20, -1, 0
	s_cmp_eq_u32 s19, s21
	s_cselect_b32 s19, s20, s28
	s_cmp_lg_u32 s19, 0
	s_cselect_b32 s9, s9, s7
	s_cselect_b32 s8, s8, s1
	s_xor_b64 s[10:11], s[22:23], s[10:11]
	s_xor_b64 s[8:9], s[8:9], s[10:11]
	s_sub_u32 s28, s8, s10
	s_subb_u32 s29, s9, s11
	s_cbranch_execnz .LBB5_9
.LBB5_8:
	v_cvt_f32_u32_e32 v1, s26
	s_sub_i32 s1, 0, s26
	s_mov_b32 s29, 0
	v_rcp_iflag_f32_e32 v1, v1
	v_mul_f32_e32 v1, 0x4f7ffffe, v1
	v_cvt_u32_f32_e32 v1, v1
	v_readfirstlane_b32 s7, v1
	s_mul_i32 s1, s1, s7
	s_mul_hi_u32 s1, s7, s1
	s_add_i32 s7, s7, s1
	s_mul_hi_u32 s1, s18, s7
	s_mul_i32 s8, s1, s26
	s_sub_i32 s8, s18, s8
	s_add_i32 s7, s1, 1
	s_sub_i32 s9, s8, s26
	s_cmp_ge_u32 s8, s26
	s_cselect_b32 s1, s7, s1
	s_cselect_b32 s8, s9, s8
	s_add_i32 s7, s1, 1
	s_cmp_ge_u32 s8, s26
	s_cselect_b32 s28, s7, s1
.LBB5_9:
	s_waitcnt lgkmcnt(0)
	v_cmp_lt_i64_e64 s[8:9], s[26:27], 1
	s_and_b64 vcc, exec, s[8:9]
	s_cbranch_vccnz .LBB5_45
; %bb.10:
	v_bfe_u32 v6, v0, 10, 10
	s_lshl_b32 s0, s0, 5
	v_add_co_u32_e32 v8, vcc, s0, v6
	v_addc_co_u32_e64 v9, s[0:1], 0, 0, vcc
	s_load_dwordx2 s[36:37], s[4:5], 0x4
	s_load_dwordx4 s[8:11], s[4:5], 0x68
	s_load_dword s38, s[4:5], 0x58
	s_mul_i32 s0, s6, s27
	s_mul_hi_u32 s1, s6, s26
	s_load_dwordx8 s[16:23], s[4:5], 0x38
	s_add_i32 s31, s1, s0
	s_mul_i32 s0, s26, s27
	s_mul_hi_u32 s1, s26, s26
	s_add_i32 s1, s1, s0
	s_add_i32 s7, s1, s0
	s_waitcnt lgkmcnt(0)
	s_cmpk_eq_i32 s36, 0x6f
	s_cselect_b64 s[4:5], -1, 0
	s_cmp_lg_u32 s38, 1
	v_lshlrev_b64 v[10:11], 3, v[8:9]
	v_and_b32_e32 v0, 0x3ff, v0
	s_cselect_b64 s[38:39], -1, 0
	v_mov_b32_e32 v14, s21
	v_add_co_u32_e32 v1, vcc, s20, v10
	v_lshlrev_b32_e32 v10, 5, v6
	s_cmp_lg_u32 s37, 0
	v_cmp_gt_i64_e64 s[0:1], s[14:15], v[8:9]
	v_addc_co_u32_e32 v7, vcc, v14, v11, vcc
	v_add_lshl_u32 v32, v10, v0, 3
	s_cselect_b64 s[14:15], -1, 0
	s_cmp_lg_u32 s24, 1
	v_mul_lo_u32 v12, v9, s10
	v_mul_lo_u32 v13, v8, s11
	v_mad_u64_u32 v[10:11], s[36:37], v8, s10, 0
	s_mov_b32 s60, s25
	s_cselect_b64 s[24:25], -1, 0
	v_add3_u32 v11, v11, v13, v12
	s_xor_b64 s[4:5], s[4:5], s[38:39]
	v_mov_b32_e32 v12, 0x2000
	s_xor_b64 s[38:39], s[4:5], -1
	v_lshl_add_u32 v35, v6, 8, v12
	v_mul_lo_u32 v16, s23, v8
	v_mul_lo_u32 v17, s22, v9
	v_mad_u64_u32 v[12:13], s[4:5], s22, v8, 0
	v_add3_u32 v13, v13, v17, v16
	v_lshlrev_b32_e32 v34, 3, v0
	v_lshlrev_b64 v[12:13], 3, v[12:13]
	v_add_co_u32_e32 v12, vcc, v12, v34
	v_addc_co_u32_e32 v13, vcc, 0, v13, vcc
	s_mul_i32 s30, s6, s26
	v_add_co_u32_e32 v12, vcc, s20, v12
	v_addc_co_u32_e32 v13, vcc, v14, v13, vcc
	s_lshl_b64 s[4:5], s[30:31], 3
	v_mov_b32_e32 v14, s5
	v_add_co_u32_e32 v16, vcc, s4, v34
	v_mov_b32_e32 v15, 0
	v_addc_co_u32_e32 v17, vcc, 0, v14, vcc
	v_lshlrev_b32_e32 v14, 3, v6
	s_mul_i32 s33, s26, s26
	v_mad_u64_u32 v[14:15], s[4:5], s26, v16, v[14:15]
	s_mul_i32 s4, s33, s13
	s_mul_hi_u32 s5, s33, s12
	v_mul_lo_u32 v17, s26, v17
	v_mul_lo_u32 v18, s27, v16
	s_add_i32 s4, s5, s4
	s_mul_i32 s5, s7, s12
	v_add3_u32 v15, v18, v15, v17
	v_mov_b32_e32 v16, s19
	v_add_co_u32_e32 v14, vcc, s18, v14
	s_add_i32 s5, s4, s5
	s_mul_i32 s4, s33, s12
	s_mov_b64 s[34:35], 0
	v_add_u32_e32 v33, 0x2000, v32
	s_and_b64 s[36:37], s[2:3], s[0:1]
	v_cmp_neq_f64_e64 s[2:3], 0, v[4:5]
	s_lshl_b64 s[20:21], s[26:27], 3
	v_addc_co_u32_e32 v15, vcc, v16, v15, vcc
	s_lshl_b64 s[40:41], s[26:27], 8
	s_lshl_b64 s[42:43], s[4:5], 3
	v_cmp_gt_i64_e64 s[44:45], s[28:29], 0
	s_branch .LBB5_12
.LBB5_11:                               ;   in Loop: Header=BB5_12 Depth=1
	s_or_b64 exec, exec, s[4:5]
	s_add_u32 s34, s34, 32
	v_mov_b32_e32 v16, s41
	v_add_co_u32_e32 v14, vcc, s40, v14
	s_addc_u32 s35, s35, 0
	v_addc_co_u32_e32 v15, vcc, v15, v16, vcc
	v_pk_mov_b32 v[16:17], s[26:27], s[26:27] op_sel:[0,1]
	v_cmp_lt_i64_e32 vcc, s[34:35], v[16:17]
	s_cbranch_vccz .LBB5_45
.LBB5_12:                               ; =>This Loop Header: Depth=1
                                        ;     Child Loop BB5_15 Depth 2
                                        ;       Child Loop BB5_17 Depth 3
	v_mov_b32_e32 v17, s35
	v_add_co_u32_e32 v16, vcc, s34, v0
	v_addc_co_u32_e32 v17, vcc, 0, v17, vcc
	s_andn2_b64 vcc, exec, s[44:45]
	v_cmp_gt_i64_e64 s[4:5], s[26:27], v[16:17]
	s_cbranch_vccnz .LBB5_35
; %bb.13:                               ;   in Loop: Header=BB5_12 Depth=1
	v_lshlrev_b64 v[18:19], 3, v[16:17]
	v_mov_b32_e32 v20, s19
	v_add_co_u32_e32 v36, vcc, s18, v18
	v_addc_co_u32_e32 v37, vcc, v20, v19, vcc
	s_mov_b64 s[46:47], 0
	v_pk_mov_b32 v[18:19], 0, 0
	v_pk_mov_b32 v[20:21], v[14:15], v[14:15] op_sel:[0,1]
	s_branch .LBB5_15
.LBB5_14:                               ;   in Loop: Header=BB5_15 Depth=2
	s_add_u32 s46, s46, 1
	s_addc_u32 s47, s47, 0
	v_mov_b32_e32 v22, s43
	v_add_co_u32_e32 v20, vcc, s42, v20
	s_cmp_eq_u64 s[46:47], s[28:29]
	v_addc_co_u32_e32 v21, vcc, v21, v22, vcc
	s_cbranch_scc1 .LBB5_36
.LBB5_15:                               ;   Parent Loop BB5_12 Depth=1
                                        ; =>  This Loop Header: Depth=2
                                        ;       Child Loop BB5_17 Depth 3
	s_mul_i32 s48, s46, s13
	s_mul_hi_u32 s49, s46, s12
	s_add_i32 s48, s49, s48
	s_mul_i32 s49, s47, s12
	s_add_i32 s49, s48, s49
	s_mul_i32 s48, s46, s12
	s_add_u32 s48, s48, s6
	s_addc_u32 s49, s49, 0
	s_mul_i32 s50, s33, s49
	s_mul_hi_u32 s51, s33, s48
	s_add_i32 s50, s51, s50
	s_mul_i32 s51, s7, s48
	s_add_i32 s51, s50, s51
	s_lshl_b64 s[52:53], s[48:49], 3
	s_add_u32 s52, s16, s52
	s_addc_u32 s53, s17, s53
	s_load_dwordx2 s[52:53], s[52:53], 0x0
	s_mul_i32 s50, s33, s48
	v_pk_mov_b32 v[24:25], v[20:21], v[20:21] op_sel:[0,1]
	s_waitcnt lgkmcnt(0)
	s_sub_u32 s52, s52, s60
	s_subb_u32 s53, s53, 0
	s_lshl_b64 s[50:51], s[50:51], 3
	v_mov_b32_e32 v22, s51
	v_add_co_u32_e32 v38, vcc, s50, v36
	s_mul_i32 s54, s52, s27
	s_mul_hi_u32 s55, s52, s26
	v_addc_co_u32_e32 v39, vcc, v37, v22, vcc
	s_mul_i32 s50, s21, s52
	s_mul_i32 s51, s20, s53
	v_mov_b32_e32 v22, s52
	v_cmp_gt_i64_e64 s[48:49], s[52:53], -1
	s_add_i32 s54, s55, s54
	s_mul_i32 s55, s53, s26
	s_add_i32 s53, s51, s50
	v_mad_u64_u32 v[22:23], s[50:51], s20, v22, v[12:13]
	s_add_i32 s61, s54, s55
	s_mul_i32 s62, s52, s26
	v_add_u32_e32 v23, s53, v23
	s_mov_b64 s[50:51], 0
	s_branch .LBB5_17
.LBB5_16:                               ;   in Loop: Header=BB5_17 Depth=3
	v_add_co_u32_e32 v22, vcc, 0x100, v22
	v_addc_co_u32_e32 v23, vcc, 0, v23, vcc
	s_add_u32 s50, s50, 32
	v_add_co_u32_e32 v24, vcc, 0x100, v24
	s_addc_u32 s51, s51, 0
	v_addc_co_u32_e32 v25, vcc, 0, v25, vcc
	v_pk_mov_b32 v[26:27], s[26:27], s[26:27] op_sel:[0,1]
	v_cmp_ge_i64_e32 vcc, s[50:51], v[26:27]
	s_barrier
	s_cbranch_vccnz .LBB5_14
.LBB5_17:                               ;   Parent Loop BB5_12 Depth=1
                                        ;     Parent Loop BB5_15 Depth=2
                                        ; =>    This Inner Loop Header: Depth=3
	v_mov_b32_e32 v26, s51
	v_add_co_u32_e32 v28, vcc, s50, v0
	v_addc_co_u32_e32 v29, vcc, 0, v26, vcc
	v_cmp_gt_i64_e32 vcc, s[26:27], v[28:29]
	s_and_b64 s[52:53], s[0:1], vcc
	s_and_b64 s[56:57], s[52:53], s[48:49]
	s_and_b64 vcc, exec, s[38:39]
	s_cbranch_vccz .LBB5_21
; %bb.18:                               ;   in Loop: Header=BB5_17 Depth=3
	s_mov_b64 s[52:53], 0
	s_mov_b64 s[54:55], 0
                                        ; implicit-def: $vgpr26_vgpr27
	s_and_saveexec_b64 s[58:59], s[56:57]
	s_xor_b64 s[58:59], exec, s[58:59]
; %bb.19:                               ;   in Loop: Header=BB5_17 Depth=3
	v_mov_b32_e32 v26, s61
	v_add_co_u32_e32 v27, vcc, s62, v28
	v_addc_co_u32_e32 v26, vcc, v29, v26, vcc
	v_mul_lo_u32 v28, v26, s22
	v_mul_lo_u32 v29, v27, s23
	v_mad_u64_u32 v[26:27], s[64:65], v27, s22, 0
	v_add3_u32 v27, v27, v29, v28
	v_lshlrev_b64 v[26:27], 3, v[26:27]
	v_add_co_u32_e32 v26, vcc, v1, v26
	s_mov_b64 s[54:55], exec
	v_addc_co_u32_e32 v27, vcc, v7, v27, vcc
; %bb.20:                               ;   in Loop: Header=BB5_17 Depth=3
	s_or_b64 exec, exec, s[58:59]
	s_and_b64 vcc, exec, s[52:53]
	s_cbranch_vccnz .LBB5_22
	s_branch .LBB5_23
.LBB5_21:                               ;   in Loop: Header=BB5_17 Depth=3
	s_mov_b64 s[52:53], -1
	s_mov_b64 s[54:55], 0
                                        ; implicit-def: $vgpr26_vgpr27
	s_cbranch_execz .LBB5_23
.LBB5_22:                               ;   in Loop: Header=BB5_17 Depth=3
	s_andn2_b64 s[54:55], s[54:55], exec
	s_and_b64 s[56:57], s[56:57], exec
	s_mov_b64 s[52:53], 0
	s_or_b64 s[54:55], s[54:55], s[56:57]
	v_pk_mov_b32 v[26:27], v[22:23], v[22:23] op_sel:[0,1]
.LBB5_23:                               ;   in Loop: Header=BB5_17 Depth=3
	v_pk_mov_b32 v[30:31], s[52:53], s[52:53] op_sel:[0,1]
	s_and_saveexec_b64 s[52:53], s[54:55]
	s_cbranch_execz .LBB5_25
; %bb.24:                               ;   in Loop: Header=BB5_17 Depth=3
	global_load_dwordx2 v[30:31], v[26:27], off
.LBB5_25:                               ;   in Loop: Header=BB5_17 Depth=3
	s_or_b64 exec, exec, s[52:53]
	v_mov_b32_e32 v26, s51
	v_add_co_u32_e32 v28, vcc, s50, v6
	v_addc_co_u32_e32 v29, vcc, 0, v26, vcc
	v_cmp_gt_i64_e32 vcc, s[26:27], v[28:29]
	s_and_b64 s[52:53], s[4:5], vcc
	s_and_b64 s[56:57], s[52:53], s[48:49]
	s_and_b64 vcc, exec, s[14:15]
	s_waitcnt vmcnt(0)
	ds_write_b64 v33, v[30:31]
	s_cbranch_vccz .LBB5_34
; %bb.26:                               ;   in Loop: Header=BB5_17 Depth=3
	s_mov_b64 s[52:53], 0
	s_mov_b64 s[54:55], 0
                                        ; implicit-def: $vgpr26_vgpr27
	s_and_saveexec_b64 s[58:59], s[56:57]
	s_xor_b64 s[58:59], exec, s[58:59]
; %bb.27:                               ;   in Loop: Header=BB5_17 Depth=3
	v_mul_lo_u32 v29, v29, s26
	v_mul_lo_u32 v30, v28, s27
	v_mad_u64_u32 v[26:27], s[64:65], v28, s26, 0
	v_add3_u32 v27, v27, v30, v29
	v_lshlrev_b64 v[26:27], 3, v[26:27]
	v_add_co_u32_e32 v26, vcc, v38, v26
	s_mov_b64 s[54:55], exec
	v_addc_co_u32_e32 v27, vcc, v39, v27, vcc
; %bb.28:                               ;   in Loop: Header=BB5_17 Depth=3
	s_or_b64 exec, exec, s[58:59]
	s_and_b64 vcc, exec, s[52:53]
	s_cbranch_vccz .LBB5_30
.LBB5_29:                               ;   in Loop: Header=BB5_17 Depth=3
	s_andn2_b64 s[54:55], s[54:55], exec
	s_and_b64 s[56:57], s[56:57], exec
	s_mov_b64 s[52:53], 0
	s_or_b64 s[54:55], s[54:55], s[56:57]
	v_pk_mov_b32 v[26:27], v[24:25], v[24:25] op_sel:[0,1]
.LBB5_30:                               ;   in Loop: Header=BB5_17 Depth=3
	v_pk_mov_b32 v[28:29], s[52:53], s[52:53] op_sel:[0,1]
	s_and_saveexec_b64 s[52:53], s[54:55]
	s_cbranch_execz .LBB5_32
; %bb.31:                               ;   in Loop: Header=BB5_17 Depth=3
	global_load_dwordx2 v[28:29], v[26:27], off
.LBB5_32:                               ;   in Loop: Header=BB5_17 Depth=3
	s_or_b64 exec, exec, s[52:53]
	s_andn2_b64 vcc, exec, s[48:49]
	s_waitcnt vmcnt(0)
	ds_write_b64 v32, v[28:29]
	s_waitcnt lgkmcnt(0)
	s_barrier
	s_cbranch_vccnz .LBB5_16
; %bb.33:                               ;   in Loop: Header=BB5_17 Depth=3
	ds_read2_b64 v[26:29], v34 offset1:32
	ds_read_b128 v[40:43], v35
	ds_read_b128 v[44:47], v35 offset:16
	ds_read2_b64 v[48:51], v34 offset0:64 offset1:96
	ds_read_b128 v[52:55], v35 offset:32
	ds_read_b128 v[56:59], v35 offset:48
	ds_read2_b64 v[60:63], v34 offset0:128 offset1:160
	s_waitcnt lgkmcnt(5)
	v_fmac_f64_e32 v[18:19], v[26:27], v[40:41]
	v_fmac_f64_e32 v[18:19], v[28:29], v[42:43]
	ds_read2_b64 v[26:29], v34 offset0:192 offset1:224
	s_waitcnt lgkmcnt(4)
	v_fmac_f64_e32 v[18:19], v[48:49], v[44:45]
	v_fmac_f64_e32 v[18:19], v[50:51], v[46:47]
	s_waitcnt lgkmcnt(1)
	v_fmac_f64_e32 v[18:19], v[60:61], v[52:53]
	v_add_u32_e32 v30, 0x800, v34
	v_fmac_f64_e32 v[18:19], v[62:63], v[54:55]
	ds_read2_b64 v[40:43], v30 offset1:32
	ds_read_b128 v[44:47], v35 offset:64
	s_waitcnt lgkmcnt(2)
	v_fmac_f64_e32 v[18:19], v[26:27], v[56:57]
	v_fmac_f64_e32 v[18:19], v[28:29], v[58:59]
	ds_read2_b64 v[26:29], v30 offset0:64 offset1:96
	ds_read_b128 v[48:51], v35 offset:80
	ds_read2_b64 v[52:55], v30 offset0:128 offset1:160
	ds_read_b128 v[56:59], v35 offset:96
	s_waitcnt lgkmcnt(4)
	v_fmac_f64_e32 v[18:19], v[40:41], v[44:45]
	v_fmac_f64_e32 v[18:19], v[42:43], v[46:47]
	ds_read2_b64 v[40:43], v30 offset0:192 offset1:224
	s_waitcnt lgkmcnt(3)
	v_fmac_f64_e32 v[18:19], v[26:27], v[48:49]
	v_fmac_f64_e32 v[18:19], v[28:29], v[50:51]
	ds_read_b128 v[26:29], v35 offset:112
	s_waitcnt lgkmcnt(2)
	v_fmac_f64_e32 v[18:19], v[52:53], v[56:57]
	v_add_u32_e32 v30, 0x1000, v34
	v_fmac_f64_e32 v[18:19], v[54:55], v[58:59]
	ds_read2_b64 v[44:47], v30 offset1:32
	ds_read_b128 v[48:51], v35 offset:128
	s_waitcnt lgkmcnt(2)
	v_fmac_f64_e32 v[18:19], v[40:41], v[26:27]
	v_fmac_f64_e32 v[18:19], v[42:43], v[28:29]
	ds_read2_b64 v[26:29], v30 offset0:64 offset1:96
	ds_read_b128 v[40:43], v35 offset:144
	ds_read2_b64 v[52:55], v30 offset0:128 offset1:160
	ds_read_b128 v[56:59], v35 offset:160
	s_waitcnt lgkmcnt(4)
	v_fmac_f64_e32 v[18:19], v[44:45], v[48:49]
	v_fmac_f64_e32 v[18:19], v[46:47], v[50:51]
	s_waitcnt lgkmcnt(2)
	v_fmac_f64_e32 v[18:19], v[26:27], v[40:41]
	v_fmac_f64_e32 v[18:19], v[28:29], v[42:43]
	ds_read_b128 v[26:29], v35 offset:176
	ds_read2_b64 v[40:43], v30 offset0:192 offset1:224
	s_waitcnt lgkmcnt(2)
	v_fmac_f64_e32 v[18:19], v[52:53], v[56:57]
	v_add_u32_e32 v30, 0x1800, v34
	ds_read2_b64 v[44:47], v30 offset1:32
	ds_read_b128 v[48:51], v35 offset:192
	v_fmac_f64_e32 v[18:19], v[54:55], v[58:59]
	s_waitcnt lgkmcnt(2)
	v_fmac_f64_e32 v[18:19], v[40:41], v[26:27]
	v_fmac_f64_e32 v[18:19], v[42:43], v[28:29]
	ds_read_b128 v[26:29], v35 offset:208
	s_waitcnt lgkmcnt(1)
	v_fmac_f64_e32 v[18:19], v[44:45], v[48:49]
	v_fmac_f64_e32 v[18:19], v[46:47], v[50:51]
	ds_read2_b64 v[40:43], v30 offset0:64 offset1:96
	ds_read2_b64 v[44:47], v30 offset0:128 offset1:160
	ds_read_b128 v[48:51], v35 offset:224
	ds_read2_b64 v[52:55], v30 offset0:192 offset1:224
	ds_read_b128 v[56:59], v35 offset:240
	s_waitcnt lgkmcnt(4)
	v_fmac_f64_e32 v[18:19], v[40:41], v[26:27]
	v_fmac_f64_e32 v[18:19], v[42:43], v[28:29]
	s_waitcnt lgkmcnt(2)
	v_fmac_f64_e32 v[18:19], v[44:45], v[48:49]
	v_fmac_f64_e32 v[18:19], v[46:47], v[50:51]
	;; [unrolled: 3-line block ×3, first 2 shown]
	s_branch .LBB5_16
.LBB5_34:                               ;   in Loop: Header=BB5_17 Depth=3
	s_mov_b64 s[52:53], -1
	s_mov_b64 s[54:55], 0
                                        ; implicit-def: $vgpr26_vgpr27
	s_cbranch_execnz .LBB5_29
	s_branch .LBB5_30
.LBB5_35:                               ;   in Loop: Header=BB5_12 Depth=1
	v_pk_mov_b32 v[18:19], 0, 0
.LBB5_36:                               ;   in Loop: Header=BB5_12 Depth=1
	v_mov_b32_e32 v20, s31
	v_add_co_u32_e32 v22, vcc, s30, v16
	v_addc_co_u32_e32 v23, vcc, v17, v20, vcc
	s_and_b64 vcc, exec, s[24:25]
	s_cbranch_vccz .LBB5_38
; %bb.37:                               ;   in Loop: Header=BB5_12 Depth=1
	v_mad_u64_u32 v[20:21], s[4:5], v22, s10, v[8:9]
	v_mul_lo_u32 v24, v22, s11
	v_mul_lo_u32 v25, v23, s10
	v_add3_u32 v21, v25, v21, v24
	s_cbranch_execz .LBB5_39
	s_branch .LBB5_40
.LBB5_38:                               ;   in Loop: Header=BB5_12 Depth=1
                                        ; implicit-def: $vgpr20_vgpr21
.LBB5_39:                               ;   in Loop: Header=BB5_12 Depth=1
	v_add_co_u32_e32 v20, vcc, v22, v10
	v_addc_co_u32_e32 v21, vcc, v23, v11, vcc
.LBB5_40:                               ;   in Loop: Header=BB5_12 Depth=1
	v_cmp_gt_i64_e32 vcc, s[26:27], v[16:17]
	s_and_b64 s[46:47], s[36:37], vcc
	s_and_saveexec_b64 s[4:5], s[46:47]
	s_cbranch_execz .LBB5_11
; %bb.41:                               ;   in Loop: Header=BB5_12 Depth=1
	v_lshlrev_b64 v[20:21], 3, v[20:21]
	v_mul_f64 v[16:17], v[2:3], v[18:19]
	s_and_saveexec_b64 s[46:47], s[2:3]
	s_xor_b64 s[46:47], exec, s[46:47]
	s_cbranch_execz .LBB5_43
; %bb.42:                               ;   in Loop: Header=BB5_12 Depth=1
	v_mov_b32_e32 v19, s9
	v_add_co_u32_e32 v18, vcc, s8, v20
	v_addc_co_u32_e32 v19, vcc, v19, v21, vcc
	global_load_dwordx2 v[20:21], v[18:19], off
	s_waitcnt vmcnt(0)
	v_fmac_f64_e32 v[16:17], v[4:5], v[20:21]
	global_store_dwordx2 v[18:19], v[16:17], off
                                        ; implicit-def: $vgpr20_vgpr21
                                        ; implicit-def: $vgpr16_vgpr17
.LBB5_43:                               ;   in Loop: Header=BB5_12 Depth=1
	s_andn2_saveexec_b64 s[46:47], s[46:47]
	s_cbranch_execz .LBB5_11
; %bb.44:                               ;   in Loop: Header=BB5_12 Depth=1
	v_mov_b32_e32 v19, s9
	v_add_co_u32_e32 v18, vcc, s8, v20
	v_addc_co_u32_e32 v19, vcc, v19, v21, vcc
	global_store_dwordx2 v[18:19], v[16:17], off
	s_branch .LBB5_11
.LBB5_45:
	s_endpgm
.LBB5_46:
                                        ; implicit-def: $sgpr28_sgpr29
	s_branch .LBB5_8
	.section	.rodata,"a",@progbits
	.p2align	6, 0x0
	.amdhsa_kernel _ZN9rocsparseL30bellmm_general_blockdim_kernelILi32ELi32EdldddEEv20rocsparse_operation_S1_20rocsparse_direction_T2_S3_NS_24const_host_device_scalarIT1_EES3_S3_PKS3_PKT3_PKT4_l16rocsparse_order_S6_PT5_lSF_21rocsparse_index_base_b
		.amdhsa_group_segment_fixed_size 16384
		.amdhsa_private_segment_fixed_size 0
		.amdhsa_kernarg_size 132
		.amdhsa_user_sgpr_count 6
		.amdhsa_user_sgpr_private_segment_buffer 1
		.amdhsa_user_sgpr_dispatch_ptr 0
		.amdhsa_user_sgpr_queue_ptr 0
		.amdhsa_user_sgpr_kernarg_segment_ptr 1
		.amdhsa_user_sgpr_dispatch_id 0
		.amdhsa_user_sgpr_flat_scratch_init 0
		.amdhsa_user_sgpr_kernarg_preload_length 0
		.amdhsa_user_sgpr_kernarg_preload_offset 0
		.amdhsa_user_sgpr_private_segment_size 0
		.amdhsa_uses_dynamic_stack 0
		.amdhsa_system_sgpr_private_segment_wavefront_offset 0
		.amdhsa_system_sgpr_workgroup_id_x 1
		.amdhsa_system_sgpr_workgroup_id_y 1
		.amdhsa_system_sgpr_workgroup_id_z 0
		.amdhsa_system_sgpr_workgroup_info 0
		.amdhsa_system_vgpr_workitem_id 1
		.amdhsa_next_free_vgpr 64
		.amdhsa_next_free_sgpr 66
		.amdhsa_accum_offset 64
		.amdhsa_reserve_vcc 1
		.amdhsa_reserve_flat_scratch 0
		.amdhsa_float_round_mode_32 0
		.amdhsa_float_round_mode_16_64 0
		.amdhsa_float_denorm_mode_32 3
		.amdhsa_float_denorm_mode_16_64 3
		.amdhsa_dx10_clamp 1
		.amdhsa_ieee_mode 1
		.amdhsa_fp16_overflow 0
		.amdhsa_tg_split 0
		.amdhsa_exception_fp_ieee_invalid_op 0
		.amdhsa_exception_fp_denorm_src 0
		.amdhsa_exception_fp_ieee_div_zero 0
		.amdhsa_exception_fp_ieee_overflow 0
		.amdhsa_exception_fp_ieee_underflow 0
		.amdhsa_exception_fp_ieee_inexact 0
		.amdhsa_exception_int_div_zero 0
	.end_amdhsa_kernel
	.section	.text._ZN9rocsparseL30bellmm_general_blockdim_kernelILi32ELi32EdldddEEv20rocsparse_operation_S1_20rocsparse_direction_T2_S3_NS_24const_host_device_scalarIT1_EES3_S3_PKS3_PKT3_PKT4_l16rocsparse_order_S6_PT5_lSF_21rocsparse_index_base_b,"axG",@progbits,_ZN9rocsparseL30bellmm_general_blockdim_kernelILi32ELi32EdldddEEv20rocsparse_operation_S1_20rocsparse_direction_T2_S3_NS_24const_host_device_scalarIT1_EES3_S3_PKS3_PKT3_PKT4_l16rocsparse_order_S6_PT5_lSF_21rocsparse_index_base_b,comdat
.Lfunc_end5:
	.size	_ZN9rocsparseL30bellmm_general_blockdim_kernelILi32ELi32EdldddEEv20rocsparse_operation_S1_20rocsparse_direction_T2_S3_NS_24const_host_device_scalarIT1_EES3_S3_PKS3_PKT3_PKT4_l16rocsparse_order_S6_PT5_lSF_21rocsparse_index_base_b, .Lfunc_end5-_ZN9rocsparseL30bellmm_general_blockdim_kernelILi32ELi32EdldddEEv20rocsparse_operation_S1_20rocsparse_direction_T2_S3_NS_24const_host_device_scalarIT1_EES3_S3_PKS3_PKT3_PKT4_l16rocsparse_order_S6_PT5_lSF_21rocsparse_index_base_b
                                        ; -- End function
	.section	.AMDGPU.csdata,"",@progbits
; Kernel info:
; codeLenInByte = 2748
; NumSgprs: 70
; NumVgprs: 64
; NumAgprs: 0
; TotalNumVgprs: 64
; ScratchSize: 0
; MemoryBound: 0
; FloatMode: 240
; IeeeMode: 1
; LDSByteSize: 16384 bytes/workgroup (compile time only)
; SGPRBlocks: 8
; VGPRBlocks: 7
; NumSGPRsForWavesPerEU: 70
; NumVGPRsForWavesPerEU: 64
; AccumOffset: 64
; Occupancy: 8
; WaveLimiterHint : 1
; COMPUTE_PGM_RSRC2:SCRATCH_EN: 0
; COMPUTE_PGM_RSRC2:USER_SGPR: 6
; COMPUTE_PGM_RSRC2:TRAP_HANDLER: 0
; COMPUTE_PGM_RSRC2:TGID_X_EN: 1
; COMPUTE_PGM_RSRC2:TGID_Y_EN: 1
; COMPUTE_PGM_RSRC2:TGID_Z_EN: 0
; COMPUTE_PGM_RSRC2:TIDIG_COMP_CNT: 1
; COMPUTE_PGM_RSRC3_GFX90A:ACCUM_OFFSET: 15
; COMPUTE_PGM_RSRC3_GFX90A:TG_SPLIT: 0
	.section	.text._ZN9rocsparseL30bellmm_general_blockdim_kernelILi32ELi32E21rocsparse_complex_numIfEiS2_S2_S2_EEv20rocsparse_operation_S3_20rocsparse_direction_T2_S5_NS_24const_host_device_scalarIT1_EES5_S5_PKS5_PKT3_PKT4_l16rocsparse_order_S8_PT5_lSH_21rocsparse_index_base_b,"axG",@progbits,_ZN9rocsparseL30bellmm_general_blockdim_kernelILi32ELi32E21rocsparse_complex_numIfEiS2_S2_S2_EEv20rocsparse_operation_S3_20rocsparse_direction_T2_S5_NS_24const_host_device_scalarIT1_EES5_S5_PKS5_PKT3_PKT4_l16rocsparse_order_S8_PT5_lSH_21rocsparse_index_base_b,comdat
	.globl	_ZN9rocsparseL30bellmm_general_blockdim_kernelILi32ELi32E21rocsparse_complex_numIfEiS2_S2_S2_EEv20rocsparse_operation_S3_20rocsparse_direction_T2_S5_NS_24const_host_device_scalarIT1_EES5_S5_PKS5_PKT3_PKT4_l16rocsparse_order_S8_PT5_lSH_21rocsparse_index_base_b ; -- Begin function _ZN9rocsparseL30bellmm_general_blockdim_kernelILi32ELi32E21rocsparse_complex_numIfEiS2_S2_S2_EEv20rocsparse_operation_S3_20rocsparse_direction_T2_S5_NS_24const_host_device_scalarIT1_EES5_S5_PKS5_PKT3_PKT4_l16rocsparse_order_S8_PT5_lSH_21rocsparse_index_base_b
	.p2align	8
	.type	_ZN9rocsparseL30bellmm_general_blockdim_kernelILi32ELi32E21rocsparse_complex_numIfEiS2_S2_S2_EEv20rocsparse_operation_S3_20rocsparse_direction_T2_S5_NS_24const_host_device_scalarIT1_EES5_S5_PKS5_PKT3_PKT4_l16rocsparse_order_S8_PT5_lSH_21rocsparse_index_base_b,@function
_ZN9rocsparseL30bellmm_general_blockdim_kernelILi32ELi32E21rocsparse_complex_numIfEiS2_S2_S2_EEv20rocsparse_operation_S3_20rocsparse_direction_T2_S5_NS_24const_host_device_scalarIT1_EES5_S5_PKS5_PKT3_PKT4_l16rocsparse_order_S8_PT5_lSH_21rocsparse_index_base_b: ; @_ZN9rocsparseL30bellmm_general_blockdim_kernelILi32ELi32E21rocsparse_complex_numIfEiS2_S2_S2_EEv20rocsparse_operation_S3_20rocsparse_direction_T2_S5_NS_24const_host_device_scalarIT1_EES5_S5_PKS5_PKT3_PKT4_l16rocsparse_order_S8_PT5_lSH_21rocsparse_index_base_b
; %bb.0:
	s_load_dwordx4 s[16:19], s[4:5], 0x68
	s_load_dwordx2 s[8:9], s[4:5], 0x18
	s_load_dwordx2 s[2:3], s[4:5], 0x50
	s_waitcnt lgkmcnt(0)
	s_bitcmp1_b32 s18, 0
	s_cselect_b64 s[0:1], -1, 0
	s_xor_b64 s[10:11], s[0:1], -1
	s_and_b64 vcc, exec, s[0:1]
	v_mov_b32_e32 v2, s8
	s_cbranch_vccnz .LBB6_2
; %bb.1:
	v_pk_mov_b32 v[2:3], s[8:9], s[8:9] op_sel:[0,1]
	flat_load_dword v2, v[2:3]
.LBB6_2:
	v_cndmask_b32_e64 v1, 0, 1, s[10:11]
	v_cmp_ne_u32_e64 s[0:1], 1, v1
	s_andn2_b64 vcc, exec, s[10:11]
	v_mov_b32_e32 v3, s9
	s_cbranch_vccz .LBB6_63
; %bb.3:
	s_and_b64 vcc, exec, s[0:1]
	v_mov_b32_e32 v4, s2
	s_cbranch_vccz .LBB6_64
.LBB6_4:
	s_and_b64 vcc, exec, s[0:1]
	v_mov_b32_e32 v5, s3
	s_cbranch_vccnz .LBB6_6
.LBB6_5:
	v_pk_mov_b32 v[6:7], s[2:3], s[2:3] op_sel:[0,1]
	flat_load_dword v5, v[6:7] offset:4
.LBB6_6:
	s_waitcnt vmcnt(0) lgkmcnt(0)
	v_and_b32_e32 v1, 0x7fffffff, v2
	v_cmp_eq_u32_e32 vcc, 0, v1
	v_cmp_eq_f32_e64 s[0:1], 0, v3
	s_and_b64 s[8:9], vcc, s[0:1]
	s_mov_b64 s[0:1], -1
	s_and_saveexec_b64 s[2:3], s[8:9]
; %bb.7:
	v_and_b32_e32 v1, 0x7fffffff, v5
	v_cmp_neq_f32_e32 vcc, 1.0, v4
	v_cmp_ne_u32_e64 s[0:1], 0, v1
	s_or_b64 s[0:1], vcc, s[0:1]
	s_orn2_b64 s[0:1], s[0:1], exec
; %bb.8:
	s_or_b64 exec, exec, s[2:3]
	s_and_saveexec_b64 s[2:3], s[0:1]
	s_cbranch_execz .LBB6_62
; %bb.9:
	s_load_dwordx4 s[20:23], s[4:5], 0x0
	s_load_dwordx2 s[18:19], s[4:5], 0x20
	s_mov_b32 s33, 0
	s_waitcnt lgkmcnt(0)
	s_cmp_lt_i32 s6, s23
	s_cselect_b64 s[2:3], -1, 0
	s_cmp_ge_i32 s6, s23
	s_cbranch_scc1 .LBB6_11
; %bb.10:
	s_abs_i32 s0, s19
	v_cvt_f32_u32_e32 v1, s0
	s_sub_i32 s9, 0, s0
	s_abs_i32 s8, s18
	s_xor_b32 s1, s18, s19
	v_rcp_iflag_f32_e32 v1, v1
	s_ashr_i32 s1, s1, 31
	v_mul_f32_e32 v1, 0x4f7ffffe, v1
	v_cvt_u32_f32_e32 v1, v1
	v_readfirstlane_b32 s10, v1
	s_mul_i32 s9, s9, s10
	s_mul_hi_u32 s9, s10, s9
	s_add_i32 s10, s10, s9
	s_mul_hi_u32 s9, s8, s10
	s_mul_i32 s10, s9, s0
	s_sub_i32 s8, s8, s10
	s_add_i32 s11, s9, 1
	s_sub_i32 s10, s8, s0
	s_cmp_ge_u32 s8, s0
	s_cselect_b32 s9, s11, s9
	s_cselect_b32 s8, s10, s8
	s_add_i32 s10, s9, 1
	s_cmp_ge_u32 s8, s0
	s_cselect_b32 s0, s10, s9
	s_xor_b32 s0, s0, s1
	s_sub_i32 s33, s0, s1
.LBB6_11:
	s_cmp_lt_i32 s19, 1
	s_cbranch_scc1 .LBB6_62
; %bb.12:
	s_load_dwordx8 s[8:15], s[4:5], 0x28
	s_load_dword s18, s[4:5], 0x10
	v_bfe_u32 v6, v0, 10, 10
	s_load_dwordx4 s[24:27], s[4:5], 0x58
	s_load_dword s29, s[4:5], 0x48
	v_lshl_add_u32 v8, s7, 5, v6
	v_ashrrev_i32_e32 v9, 31, v8
	v_and_b32_e32 v7, 0x3ff, v0
	s_waitcnt lgkmcnt(0)
	v_mul_lo_u32 v10, v9, s14
	v_mul_lo_u32 v11, v8, s15
	v_mad_u64_u32 v[0:1], s[0:1], v8, s14, 0
	s_cmp_gt_i32 s33, 0
	v_add3_u32 v1, v1, v11, v10
	s_cselect_b64 s[4:5], -1, 0
	v_lshlrev_b64 v[10:11], 3, v[8:9]
	s_cmpk_eq_i32 s21, 0x6f
	v_mov_b32_e32 v12, s13
	v_add_co_u32_e32 v26, vcc, s12, v10
	s_cselect_b64 s[42:43], -1, 0
	s_cmp_lg_u32 s29, 1
	v_addc_co_u32_e32 v27, vcc, v12, v11, vcc
	s_cselect_b64 s[44:45], -1, 0
	v_lshlrev_b64 v[0:1], 3, v[0:1]
	s_cmp_lg_u32 s22, 0
	v_add_co_u32_e32 v30, vcc, s12, v0
	s_cselect_b64 s[12:13], -1, 0
	s_cmpk_eq_i32 s21, 0x71
	s_cselect_b64 s[34:35], -1, 0
	s_cmpk_lg_i32 s21, 0x71
	s_cselect_b64 s[30:31], -1, 0
	s_cmpk_lg_i32 s20, 0x71
	s_cselect_b64 s[36:37], -1, 0
	v_lshlrev_b32_e32 v10, 5, v6
	s_or_b64 s[20:21], s[36:37], s[30:31]
	s_and_b64 s[30:31], s[36:37], s[34:35]
	v_add_lshl_u32 v28, v10, v7, 3
	v_addc_co_u32_e32 v31, vcc, v12, v1, vcc
	s_xor_b64 s[30:31], s[30:31], -1
	s_or_b64 s[34:35], s[36:37], s[34:35]
	v_mul_lo_u32 v10, v9, s26
	v_mul_lo_u32 v11, v8, s27
	v_mad_u64_u32 v[0:1], s[38:39], v8, s26, 0
	v_cmp_gt_i32_e64 s[0:1], s18, v8
	s_cmp_lg_u32 s16, 1
	v_add3_u32 v1, v1, v11, v10
	v_and_b32_e32 v10, 0x7fffffff, v4
	s_mul_i32 s7, s6, s19
	s_cselect_b64 s[36:37], -1, 0
	s_and_b64 s[38:39], s[2:3], s[0:1]
	v_cmp_ne_u32_e32 vcc, 0, v10
	v_cmp_neq_f32_e64 s[2:3], 0, v5
	v_mov_b32_e32 v14, 0x2000
	s_or_b64 s[40:41], vcc, s[2:3]
	s_xor_b64 s[2:3], s[42:43], s[44:45]
	v_lshl_add_u32 v33, v6, 8, v14
	v_add_u32_e32 v14, s7, v7
	s_xor_b64 s[42:43], s[2:3], -1
	v_mad_u64_u32 v[14:15], s[2:3], s19, v14, v[6:7]
	s_mul_i32 s18, s19, s19
	v_cndmask_b32_e64 v15, 0, 1, s[4:5]
	s_mov_b32 s28, 0
	v_add_u32_e32 v29, 0x2000, v28
	v_xor_b32_e32 v10, 0x80000000, v3
	v_xor_b32_e32 v12, 0x80000000, v5
	v_mov_b32_e32 v11, v2
	v_mov_b32_e32 v13, v4
	v_lshlrev_b32_e32 v32, 3, v7
	s_lshl_b32 s16, s19, 5
	s_mul_i32 s18, s18, s23
	v_cmp_ne_u32_e64 s[2:3], 1, v15
	v_mov_b32_e32 v17, 0
	s_mov_b32 s22, 0
	s_branch .LBB6_14
.LBB6_13:                               ;   in Loop: Header=BB6_14 Depth=1
	s_or_b64 exec, exec, s[4:5]
	s_add_i32 s22, s22, 32
	s_cmp_lt_i32 s22, s19
	v_add_u32_e32 v14, s16, v14
	s_cbranch_scc0 .LBB6_62
.LBB6_14:                               ; =>This Loop Header: Depth=1
                                        ;     Child Loop BB6_17 Depth 2
                                        ;       Child Loop BB6_20 Depth 3
	v_add_u32_e32 v18, s22, v7
	s_mov_b32 s29, s28
	s_and_b64 vcc, exec, s[2:3]
	v_pk_mov_b32 v[20:21], s[28:29], s[28:29] op_sel:[0,1]
	v_cmp_gt_i32_e64 s[4:5], s19, v18
	s_cbranch_vccnz .LBB6_53
; %bb.15:                               ;   in Loop: Header=BB6_14 Depth=1
	s_mov_b32 s54, 0
	v_pk_mov_b32 v[20:21], s[28:29], s[28:29] op_sel:[0,1]
	v_mov_b32_e32 v15, v14
	s_branch .LBB6_17
.LBB6_16:                               ;   in Loop: Header=BB6_17 Depth=2
	s_add_i32 s54, s54, 1
	s_cmp_eq_u32 s54, s33
	v_add_u32_e32 v15, s18, v15
	s_cbranch_scc1 .LBB6_53
.LBB6_17:                               ;   Parent Loop BB6_14 Depth=1
                                        ; =>  This Loop Header: Depth=2
                                        ;       Child Loop BB6_20 Depth 3
	s_mul_i32 s29, s54, s23
	s_add_i32 s44, s29, s6
	s_ashr_i32 s45, s44, 31
	s_lshl_b64 s[46:47], s[44:45], 2
	s_add_u32 s46, s8, s46
	s_addc_u32 s47, s9, s47
	s_load_dword s45, s[46:47], 0x0
	s_mul_i32 s29, s44, s19
	s_mov_b32 s55, 0
	s_waitcnt lgkmcnt(0)
	s_sub_i32 s44, s45, s17
	s_cmp_gt_i32 s44, -1
	s_mul_i32 s46, s44, s19
	s_cselect_b64 s[44:45], -1, 0
	v_add_u32_e32 v19, s46, v7
	s_branch .LBB6_20
.LBB6_18:                               ;   in Loop: Header=BB6_20 Depth=3
	v_pk_mov_b32 v[20:21], v[22:23], v[22:23] op_sel:[0,1]
.LBB6_19:                               ;   in Loop: Header=BB6_20 Depth=3
	s_add_i32 s55, s55, 32
	s_cmp_ge_i32 s55, s19
	s_barrier
	s_cbranch_scc1 .LBB6_16
.LBB6_20:                               ;   Parent Loop BB6_14 Depth=1
                                        ;     Parent Loop BB6_17 Depth=2
                                        ; =>    This Inner Loop Header: Depth=3
	v_add_u32_e32 v16, s55, v7
	v_cmp_gt_i32_e32 vcc, s19, v16
	s_and_b64 s[46:47], s[0:1], vcc
	s_and_b64 s[48:49], s[46:47], s[44:45]
	s_and_b64 vcc, exec, s[42:43]
	s_cbranch_vccz .LBB6_24
; %bb.21:                               ;   in Loop: Header=BB6_20 Depth=3
	s_mov_b64 s[50:51], 0
	s_mov_b64 s[46:47], 0
                                        ; implicit-def: $vgpr22_vgpr23
	s_and_saveexec_b64 s[52:53], s[48:49]
	s_xor_b64 s[52:53], exec, s[52:53]
; %bb.22:                               ;   in Loop: Header=BB6_20 Depth=3
	v_add_u32_e32 v24, s55, v19
	v_mad_u64_u32 v[22:23], s[56:57], v24, s14, 0
	v_mov_b32_e32 v16, v23
	v_mad_u64_u32 v[24:25], s[56:57], v24, s15, v[16:17]
	v_mov_b32_e32 v23, v24
	v_lshlrev_b64 v[22:23], 3, v[22:23]
	v_add_co_u32_e32 v22, vcc, v26, v22
	s_mov_b64 s[46:47], exec
	v_addc_co_u32_e32 v23, vcc, v27, v23, vcc
; %bb.23:                               ;   in Loop: Header=BB6_20 Depth=3
	s_or_b64 exec, exec, s[52:53]
	s_mov_b32 s52, 0
	s_and_b64 vcc, exec, s[50:51]
	s_cbranch_vccnz .LBB6_25
	s_branch .LBB6_28
.LBB6_24:                               ;   in Loop: Header=BB6_20 Depth=3
	s_mov_b64 s[46:47], 0
                                        ; implicit-def: $vgpr22_vgpr23
                                        ; implicit-def: $sgpr52
	s_cbranch_execz .LBB6_28
.LBB6_25:                               ;   in Loop: Header=BB6_20 Depth=3
                                        ; implicit-def: $vgpr22_vgpr23
	s_and_saveexec_b64 s[50:51], s[48:49]
; %bb.26:                               ;   in Loop: Header=BB6_20 Depth=3
	v_add_u32_e32 v16, s55, v19
	v_lshlrev_b64 v[22:23], 3, v[16:17]
	v_add_co_u32_e32 v22, vcc, v30, v22
	v_addc_co_u32_e32 v23, vcc, v31, v23, vcc
	s_or_b64 s[46:47], s[46:47], exec
; %bb.27:                               ;   in Loop: Header=BB6_20 Depth=3
	s_or_b64 exec, exec, s[50:51]
	s_mov_b32 s52, 0
.LBB6_28:                               ;   in Loop: Header=BB6_20 Depth=3
	v_mov_b32_e32 v24, s52
	v_mov_b32_e32 v25, s52
	s_and_saveexec_b64 s[48:49], s[46:47]
	s_cbranch_execz .LBB6_30
; %bb.29:                               ;   in Loop: Header=BB6_20 Depth=3
	global_load_dwordx2 v[24:25], v[22:23], off
.LBB6_30:                               ;   in Loop: Header=BB6_20 Depth=3
	s_or_b64 exec, exec, s[48:49]
	v_add_u32_e32 v16, s55, v6
	v_cmp_gt_i32_e32 vcc, s19, v16
	s_and_b64 s[46:47], s[4:5], vcc
	s_and_b64 s[48:49], s[46:47], s[44:45]
	s_and_b64 vcc, exec, s[12:13]
	s_waitcnt vmcnt(0)
	ds_write_b64 v29, v[24:25]
	s_cbranch_vccz .LBB6_41
; %bb.31:                               ;   in Loop: Header=BB6_20 Depth=3
	s_mov_b64 s[50:51], 0
	s_mov_b64 s[46:47], 0
                                        ; implicit-def: $vgpr22
	s_and_saveexec_b64 s[52:53], s[48:49]
	s_xor_b64 s[52:53], exec, s[52:53]
; %bb.32:                               ;   in Loop: Header=BB6_20 Depth=3
	v_add_u32_e32 v16, s29, v16
	s_mov_b64 s[46:47], exec
	v_mad_u64_u32 v[22:23], s[56:57], v16, s19, v[18:19]
; %bb.33:                               ;   in Loop: Header=BB6_20 Depth=3
	s_or_b64 exec, exec, s[52:53]
	s_mov_b32 s52, 0
	s_and_b64 vcc, exec, s[50:51]
	s_cbranch_vccnz .LBB6_42
.LBB6_34:                               ;   in Loop: Header=BB6_20 Depth=3
	v_mov_b32_e32 v24, s52
	v_mov_b32_e32 v25, s52
	s_and_saveexec_b64 s[48:49], s[46:47]
	s_cbranch_execz .LBB6_36
.LBB6_35:                               ;   in Loop: Header=BB6_20 Depth=3
	v_ashrrev_i32_e32 v23, 31, v22
	v_lshlrev_b64 v[22:23], 3, v[22:23]
	v_mov_b32_e32 v16, s11
	v_add_co_u32_e32 v22, vcc, s10, v22
	v_addc_co_u32_e32 v23, vcc, v16, v23, vcc
	global_load_dwordx2 v[24:25], v[22:23], off
.LBB6_36:                               ;   in Loop: Header=BB6_20 Depth=3
	s_or_b64 exec, exec, s[48:49]
	s_andn2_b64 vcc, exec, s[44:45]
	s_waitcnt vmcnt(0)
	ds_write_b64 v28, v[24:25]
	s_waitcnt lgkmcnt(0)
	s_barrier
	s_cbranch_vccnz .LBB6_19
; %bb.37:                               ;   in Loop: Header=BB6_20 Depth=3
	s_and_b64 vcc, exec, s[20:21]
	s_cbranch_vccz .LBB6_45
; %bb.38:                               ;   in Loop: Header=BB6_20 Depth=3
	s_and_b64 vcc, exec, s[30:31]
	s_cbranch_vccz .LBB6_46
	;; [unrolled: 3-line block ×3, first 2 shown]
; %bb.40:                               ;   in Loop: Header=BB6_20 Depth=3
	ds_read2_b64 v[22:25], v32 offset1:32
	ds_read_b128 v[34:37], v33
	ds_read_b128 v[38:41], v33 offset:16
	ds_read_b128 v[42:45], v33 offset:32
	ds_read_b128 v[46:49], v33 offset:48
	ds_read2_b64 v[50:53], v32 offset0:64 offset1:96
	s_waitcnt lgkmcnt(4)
	v_pk_fma_f32 v[54:55], v[22:23], v[34:35], v[20:21] op_sel_hi:[1,0,1]
	v_pk_fma_f32 v[22:23], v[22:23], v[34:35], v[54:55] op_sel:[1,1,0] op_sel_hi:[0,1,1] neg_lo:[1,0,0]
	v_pk_fma_f32 v[22:23], v[24:25], v[36:37], v[22:23] op_sel_hi:[1,0,1]
	v_mov_b32_e32 v16, v37
	v_pk_fma_f32 v[22:23], v[24:25], v[16:17], v[22:23] op_sel:[1,0,0] op_sel_hi:[0,0,1] neg_lo:[1,0,0]
	s_waitcnt lgkmcnt(0)
	v_pk_fma_f32 v[34:35], v[50:51], v[38:39], v[22:23] op_sel_hi:[1,0,1]
	ds_read2_b64 v[22:25], v32 offset0:128 offset1:160
	v_pk_fma_f32 v[34:35], v[50:51], v[38:39], v[34:35] op_sel:[1,1,0] op_sel_hi:[0,1,1] neg_lo:[1,0,0]
	v_pk_fma_f32 v[34:35], v[52:53], v[40:41], v[34:35] op_sel_hi:[1,0,1]
	v_mov_b32_e32 v16, v41
	v_pk_fma_f32 v[34:35], v[52:53], v[16:17], v[34:35] op_sel:[1,0,0] op_sel_hi:[0,0,1] neg_lo:[1,0,0]
	s_waitcnt lgkmcnt(0)
	v_pk_fma_f32 v[38:39], v[22:23], v[42:43], v[34:35] op_sel_hi:[1,0,1]
	ds_read2_b64 v[34:37], v32 offset0:192 offset1:224
	v_pk_fma_f32 v[22:23], v[22:23], v[42:43], v[38:39] op_sel:[1,1,0] op_sel_hi:[0,1,1] neg_lo:[1,0,0]
	v_pk_fma_f32 v[22:23], v[24:25], v[44:45], v[22:23] op_sel_hi:[1,0,1]
	v_mov_b32_e32 v16, v45
	v_pk_fma_f32 v[22:23], v[24:25], v[16:17], v[22:23] op_sel:[1,0,0] op_sel_hi:[0,0,1] neg_lo:[1,0,0]
	s_waitcnt lgkmcnt(0)
	v_pk_fma_f32 v[22:23], v[34:35], v[46:47], v[22:23] op_sel_hi:[1,0,1]
	v_add_u32_e32 v50, 0x800, v32
	v_pk_fma_f32 v[34:35], v[34:35], v[46:47], v[22:23] op_sel:[1,1,0] op_sel_hi:[0,1,1] neg_lo:[1,0,0]
	ds_read2_b64 v[22:25], v50 offset1:32
	ds_read_b128 v[38:41], v33 offset:64
	v_pk_fma_f32 v[34:35], v[36:37], v[48:49], v[34:35] op_sel_hi:[1,0,1]
	v_mov_b32_e32 v16, v49
	v_pk_fma_f32 v[42:43], v[36:37], v[16:17], v[34:35] op_sel:[1,0,0] op_sel_hi:[0,0,1] neg_lo:[1,0,0]
	ds_read_b128 v[34:37], v33 offset:80
	s_waitcnt lgkmcnt(1)
	v_pk_fma_f32 v[46:47], v[22:23], v[38:39], v[42:43] op_sel_hi:[1,0,1]
	ds_read2_b64 v[42:45], v50 offset0:64 offset1:96
	v_pk_fma_f32 v[22:23], v[22:23], v[38:39], v[46:47] op_sel:[1,1,0] op_sel_hi:[0,1,1] neg_lo:[1,0,0]
	v_pk_fma_f32 v[22:23], v[24:25], v[40:41], v[22:23] op_sel_hi:[1,0,1]
	v_mov_b32_e32 v16, v41
	v_pk_fma_f32 v[22:23], v[24:25], v[16:17], v[22:23] op_sel:[1,0,0] op_sel_hi:[0,0,1] neg_lo:[1,0,0]
	s_waitcnt lgkmcnt(0)
	v_pk_fma_f32 v[22:23], v[42:43], v[34:35], v[22:23] op_sel_hi:[1,0,1]
	v_pk_fma_f32 v[34:35], v[42:43], v[34:35], v[22:23] op_sel:[1,1,0] op_sel_hi:[0,1,1] neg_lo:[1,0,0]
	ds_read2_b64 v[22:25], v50 offset0:128 offset1:160
	ds_read_b128 v[38:41], v33 offset:96
	v_pk_fma_f32 v[34:35], v[44:45], v[36:37], v[34:35] op_sel_hi:[1,0,1]
	v_mov_b32_e32 v16, v37
	v_pk_fma_f32 v[42:43], v[44:45], v[16:17], v[34:35] op_sel:[1,0,0] op_sel_hi:[0,0,1] neg_lo:[1,0,0]
	ds_read_b128 v[34:37], v33 offset:112
	s_waitcnt lgkmcnt(1)
	v_pk_fma_f32 v[46:47], v[22:23], v[38:39], v[42:43] op_sel_hi:[1,0,1]
	ds_read2_b64 v[42:45], v50 offset0:192 offset1:224
	v_pk_fma_f32 v[22:23], v[22:23], v[38:39], v[46:47] op_sel:[1,1,0] op_sel_hi:[0,1,1] neg_lo:[1,0,0]
	v_pk_fma_f32 v[22:23], v[24:25], v[40:41], v[22:23] op_sel_hi:[1,0,1]
	v_mov_b32_e32 v16, v41
	v_pk_fma_f32 v[22:23], v[24:25], v[16:17], v[22:23] op_sel:[1,0,0] op_sel_hi:[0,0,1] neg_lo:[1,0,0]
	s_waitcnt lgkmcnt(0)
	v_pk_fma_f32 v[22:23], v[42:43], v[34:35], v[22:23] op_sel_hi:[1,0,1]
	v_add_u32_e32 v48, 0x1000, v32
	v_pk_fma_f32 v[34:35], v[42:43], v[34:35], v[22:23] op_sel:[1,1,0] op_sel_hi:[0,1,1] neg_lo:[1,0,0]
	ds_read2_b64 v[22:25], v48 offset1:32
	ds_read_b128 v[38:41], v33 offset:128
	v_pk_fma_f32 v[34:35], v[44:45], v[36:37], v[34:35] op_sel_hi:[1,0,1]
	v_mov_b32_e32 v16, v37
	v_pk_fma_f32 v[42:43], v[44:45], v[16:17], v[34:35] op_sel:[1,0,0] op_sel_hi:[0,0,1] neg_lo:[1,0,0]
	ds_read_b128 v[34:37], v33 offset:144
	s_waitcnt lgkmcnt(1)
	v_pk_fma_f32 v[46:47], v[22:23], v[38:39], v[42:43] op_sel_hi:[1,0,1]
	ds_read2_b64 v[42:45], v48 offset0:64 offset1:96
	v_pk_fma_f32 v[22:23], v[22:23], v[38:39], v[46:47] op_sel:[1,1,0] op_sel_hi:[0,1,1] neg_lo:[1,0,0]
	v_pk_fma_f32 v[22:23], v[24:25], v[40:41], v[22:23] op_sel_hi:[1,0,1]
	v_mov_b32_e32 v16, v41
	v_pk_fma_f32 v[22:23], v[24:25], v[16:17], v[22:23] op_sel:[1,0,0] op_sel_hi:[0,0,1] neg_lo:[1,0,0]
	s_waitcnt lgkmcnt(0)
	v_pk_fma_f32 v[22:23], v[42:43], v[34:35], v[22:23] op_sel_hi:[1,0,1]
	v_pk_fma_f32 v[34:35], v[42:43], v[34:35], v[22:23] op_sel:[1,1,0] op_sel_hi:[0,1,1] neg_lo:[1,0,0]
	ds_read2_b64 v[22:25], v48 offset0:128 offset1:160
	ds_read_b128 v[38:41], v33 offset:160
	v_pk_fma_f32 v[34:35], v[44:45], v[36:37], v[34:35] op_sel_hi:[1,0,1]
	v_mov_b32_e32 v16, v37
	v_pk_fma_f32 v[42:43], v[44:45], v[16:17], v[34:35] op_sel:[1,0,0] op_sel_hi:[0,0,1] neg_lo:[1,0,0]
	ds_read_b128 v[34:37], v33 offset:176
	;; [unrolled: 33-line block ×3, first 2 shown]
	s_waitcnt lgkmcnt(1)
	v_pk_fma_f32 v[46:47], v[22:23], v[38:39], v[42:43] op_sel_hi:[1,0,1]
	ds_read2_b64 v[42:45], v48 offset0:192 offset1:224
	v_pk_fma_f32 v[22:23], v[22:23], v[38:39], v[46:47] op_sel:[1,1,0] op_sel_hi:[0,1,1] neg_lo:[1,0,0]
	v_pk_fma_f32 v[22:23], v[24:25], v[40:41], v[22:23] op_sel_hi:[1,0,1]
	v_mov_b32_e32 v16, v41
	v_pk_fma_f32 v[22:23], v[24:25], v[16:17], v[22:23] op_sel:[1,0,0] op_sel_hi:[0,0,1] neg_lo:[1,0,0]
	s_waitcnt lgkmcnt(0)
	v_pk_fma_f32 v[22:23], v[42:43], v[34:35], v[22:23] op_sel_hi:[1,0,1]
	v_pk_fma_f32 v[22:23], v[42:43], v[34:35], v[22:23] op_sel:[1,1,0] op_sel_hi:[0,1,1] neg_lo:[1,0,0]
	v_pk_fma_f32 v[22:23], v[44:45], v[36:37], v[22:23] op_sel_hi:[1,0,1]
	v_mov_b32_e32 v16, v37
	v_pk_fma_f32 v[22:23], v[44:45], v[16:17], v[22:23] op_sel:[1,0,0] op_sel_hi:[0,0,1] neg_lo:[1,0,0]
	s_cbranch_execz .LBB6_48
	s_branch .LBB6_49
.LBB6_41:                               ;   in Loop: Header=BB6_20 Depth=3
	s_mov_b64 s[46:47], 0
                                        ; implicit-def: $vgpr22
                                        ; implicit-def: $sgpr52
	s_cbranch_execz .LBB6_34
.LBB6_42:                               ;   in Loop: Header=BB6_20 Depth=3
                                        ; implicit-def: $vgpr22
	s_and_saveexec_b64 s[50:51], s[48:49]
; %bb.43:                               ;   in Loop: Header=BB6_20 Depth=3
	v_add_u32_e32 v22, s55, v15
	s_or_b64 s[46:47], s[46:47], exec
; %bb.44:                               ;   in Loop: Header=BB6_20 Depth=3
	s_or_b64 exec, exec, s[50:51]
	s_mov_b32 s52, 0
	v_mov_b32_e32 v24, s52
	v_mov_b32_e32 v25, s52
	s_and_saveexec_b64 s[48:49], s[46:47]
	s_cbranch_execnz .LBB6_35
	s_branch .LBB6_36
.LBB6_45:                               ;   in Loop: Header=BB6_20 Depth=3
                                        ; implicit-def: $vgpr22_vgpr23
	s_branch .LBB6_52
.LBB6_46:                               ;   in Loop: Header=BB6_20 Depth=3
                                        ; implicit-def: $vgpr22_vgpr23
	s_branch .LBB6_50
.LBB6_47:                               ;   in Loop: Header=BB6_20 Depth=3
                                        ; implicit-def: $vgpr22_vgpr23
.LBB6_48:                               ;   in Loop: Header=BB6_20 Depth=3
	ds_read2_b64 v[22:25], v32 offset1:32
	ds_read_b128 v[34:37], v33
	ds_read_b128 v[38:41], v33 offset:16
	ds_read_b128 v[42:45], v33 offset:32
	;; [unrolled: 1-line block ×3, first 2 shown]
	s_waitcnt lgkmcnt(4)
	v_xor_b32_e32 v51, 0x80000000, v23
	v_mov_b32_e32 v50, v22
	s_waitcnt lgkmcnt(3)
	v_pk_fma_f32 v[50:51], v[50:51], v[34:35], v[20:21] op_sel_hi:[1,0,1]
	v_pk_fma_f32 v[22:23], v[22:23], v[34:35], v[50:51] op_sel:[1,1,0] op_sel_hi:[0,1,1]
	ds_read2_b64 v[50:53], v32 offset0:64 offset1:96
	v_xor_b32_e32 v35, 0x80000000, v25
	v_mov_b32_e32 v34, v24
	v_pk_fma_f32 v[22:23], v[34:35], v[36:37], v[22:23] op_sel_hi:[1,0,1]
	v_mov_b32_e32 v16, v37
	v_pk_fma_f32 v[22:23], v[24:25], v[16:17], v[22:23] op_sel:[1,0,0] op_sel_hi:[0,0,1]
	s_waitcnt lgkmcnt(0)
	v_xor_b32_e32 v25, 0x80000000, v51
	v_mov_b32_e32 v24, v50
	v_pk_fma_f32 v[22:23], v[24:25], v[38:39], v[22:23] op_sel_hi:[1,0,1]
	v_pk_fma_f32 v[34:35], v[50:51], v[38:39], v[22:23] op_sel:[1,1,0] op_sel_hi:[0,1,1]
	ds_read2_b64 v[22:25], v32 offset0:128 offset1:160
	v_xor_b32_e32 v37, 0x80000000, v53
	v_mov_b32_e32 v36, v52
	v_pk_fma_f32 v[34:35], v[36:37], v[40:41], v[34:35] op_sel_hi:[1,0,1]
	v_mov_b32_e32 v16, v41
	v_pk_fma_f32 v[34:35], v[52:53], v[16:17], v[34:35] op_sel:[1,0,0] op_sel_hi:[0,0,1]
	s_waitcnt lgkmcnt(0)
	v_xor_b32_e32 v37, 0x80000000, v23
	v_mov_b32_e32 v36, v22
	v_pk_fma_f32 v[34:35], v[36:37], v[42:43], v[34:35] op_sel_hi:[1,0,1]
	v_pk_fma_f32 v[22:23], v[22:23], v[42:43], v[34:35] op_sel:[1,1,0] op_sel_hi:[0,1,1]
	ds_read2_b64 v[34:37], v32 offset0:192 offset1:224
	v_xor_b32_e32 v39, 0x80000000, v25
	v_mov_b32_e32 v38, v24
	v_pk_fma_f32 v[22:23], v[38:39], v[44:45], v[22:23] op_sel_hi:[1,0,1]
	v_mov_b32_e32 v16, v45
	v_pk_fma_f32 v[22:23], v[24:25], v[16:17], v[22:23] op_sel:[1,0,0] op_sel_hi:[0,0,1]
	s_waitcnt lgkmcnt(0)
	v_xor_b32_e32 v25, 0x80000000, v35
	v_mov_b32_e32 v24, v34
	v_pk_fma_f32 v[22:23], v[24:25], v[46:47], v[22:23] op_sel_hi:[1,0,1]
	v_pk_fma_f32 v[34:35], v[34:35], v[46:47], v[22:23] op_sel:[1,1,0] op_sel_hi:[0,1,1]
	v_add_u32_e32 v46, 0x800, v32
	v_xor_b32_e32 v39, 0x80000000, v37
	v_mov_b32_e32 v38, v36
	ds_read2_b64 v[22:25], v46 offset1:32
	v_pk_fma_f32 v[34:35], v[38:39], v[48:49], v[34:35] op_sel_hi:[1,0,1]
	ds_read_b128 v[38:41], v33 offset:64
	v_mov_b32_e32 v16, v49
	v_pk_fma_f32 v[42:43], v[36:37], v[16:17], v[34:35] op_sel:[1,0,0] op_sel_hi:[0,0,1]
	ds_read_b128 v[34:37], v33 offset:80
	s_waitcnt lgkmcnt(2)
	v_xor_b32_e32 v45, 0x80000000, v23
	v_mov_b32_e32 v44, v22
	s_waitcnt lgkmcnt(1)
	v_pk_fma_f32 v[42:43], v[44:45], v[38:39], v[42:43] op_sel_hi:[1,0,1]
	v_pk_fma_f32 v[22:23], v[22:23], v[38:39], v[42:43] op_sel:[1,1,0] op_sel_hi:[0,1,1]
	ds_read2_b64 v[42:45], v46 offset0:64 offset1:96
	v_xor_b32_e32 v39, 0x80000000, v25
	v_mov_b32_e32 v38, v24
	v_pk_fma_f32 v[22:23], v[38:39], v[40:41], v[22:23] op_sel_hi:[1,0,1]
	v_mov_b32_e32 v16, v41
	v_pk_fma_f32 v[22:23], v[24:25], v[16:17], v[22:23] op_sel:[1,0,0] op_sel_hi:[0,0,1]
	s_waitcnt lgkmcnt(0)
	v_xor_b32_e32 v25, 0x80000000, v43
	v_mov_b32_e32 v24, v42
	v_pk_fma_f32 v[22:23], v[24:25], v[34:35], v[22:23] op_sel_hi:[1,0,1]
	v_pk_fma_f32 v[34:35], v[42:43], v[34:35], v[22:23] op_sel:[1,1,0] op_sel_hi:[0,1,1]
	v_xor_b32_e32 v39, 0x80000000, v45
	v_mov_b32_e32 v38, v44
	ds_read2_b64 v[22:25], v46 offset0:128 offset1:160
	v_pk_fma_f32 v[38:39], v[38:39], v[36:37], v[34:35] op_sel_hi:[1,0,1]
	v_mov_b32_e32 v16, v37
	ds_read_b128 v[34:37], v33 offset:96
	v_pk_fma_f32 v[42:43], v[44:45], v[16:17], v[38:39] op_sel:[1,0,0] op_sel_hi:[0,0,1]
	ds_read_b128 v[38:41], v33 offset:112
	s_waitcnt lgkmcnt(2)
	v_xor_b32_e32 v45, 0x80000000, v23
	v_mov_b32_e32 v44, v22
	s_waitcnt lgkmcnt(1)
	v_pk_fma_f32 v[42:43], v[44:45], v[34:35], v[42:43] op_sel_hi:[1,0,1]
	v_pk_fma_f32 v[22:23], v[22:23], v[34:35], v[42:43] op_sel:[1,1,0] op_sel_hi:[0,1,1]
	ds_read2_b64 v[42:45], v46 offset0:192 offset1:224
	v_xor_b32_e32 v35, 0x80000000, v25
	v_mov_b32_e32 v34, v24
	v_pk_fma_f32 v[22:23], v[34:35], v[36:37], v[22:23] op_sel_hi:[1,0,1]
	v_mov_b32_e32 v16, v37
	v_pk_fma_f32 v[22:23], v[24:25], v[16:17], v[22:23] op_sel:[1,0,0] op_sel_hi:[0,0,1]
	s_waitcnt lgkmcnt(0)
	v_xor_b32_e32 v25, 0x80000000, v43
	v_mov_b32_e32 v24, v42
	v_pk_fma_f32 v[22:23], v[24:25], v[38:39], v[22:23] op_sel_hi:[1,0,1]
	v_add_u32_e32 v46, 0x1000, v32
	v_pk_fma_f32 v[34:35], v[42:43], v[38:39], v[22:23] op_sel:[1,1,0] op_sel_hi:[0,1,1]
	v_xor_b32_e32 v37, 0x80000000, v45
	v_mov_b32_e32 v36, v44
	ds_read2_b64 v[22:25], v46 offset1:32
	v_pk_fma_f32 v[38:39], v[36:37], v[40:41], v[34:35] op_sel_hi:[1,0,1]
	ds_read_b128 v[34:37], v33 offset:128
	v_mov_b32_e32 v16, v41
	v_pk_fma_f32 v[42:43], v[44:45], v[16:17], v[38:39] op_sel:[1,0,0] op_sel_hi:[0,0,1]
	ds_read_b128 v[38:41], v33 offset:144
	s_waitcnt lgkmcnt(2)
	v_xor_b32_e32 v45, 0x80000000, v23
	v_mov_b32_e32 v44, v22
	s_waitcnt lgkmcnt(1)
	v_pk_fma_f32 v[42:43], v[44:45], v[34:35], v[42:43] op_sel_hi:[1,0,1]
	v_pk_fma_f32 v[22:23], v[22:23], v[34:35], v[42:43] op_sel:[1,1,0] op_sel_hi:[0,1,1]
	ds_read2_b64 v[42:45], v46 offset0:64 offset1:96
	v_xor_b32_e32 v35, 0x80000000, v25
	v_mov_b32_e32 v34, v24
	v_pk_fma_f32 v[22:23], v[34:35], v[36:37], v[22:23] op_sel_hi:[1,0,1]
	v_mov_b32_e32 v16, v37
	v_pk_fma_f32 v[22:23], v[24:25], v[16:17], v[22:23] op_sel:[1,0,0] op_sel_hi:[0,0,1]
	s_waitcnt lgkmcnt(0)
	v_xor_b32_e32 v25, 0x80000000, v43
	v_mov_b32_e32 v24, v42
	v_pk_fma_f32 v[22:23], v[24:25], v[38:39], v[22:23] op_sel_hi:[1,0,1]
	v_pk_fma_f32 v[34:35], v[42:43], v[38:39], v[22:23] op_sel:[1,1,0] op_sel_hi:[0,1,1]
	v_xor_b32_e32 v37, 0x80000000, v45
	v_mov_b32_e32 v36, v44
	ds_read2_b64 v[22:25], v46 offset0:128 offset1:160
	v_pk_fma_f32 v[38:39], v[36:37], v[40:41], v[34:35] op_sel_hi:[1,0,1]
	ds_read_b128 v[34:37], v33 offset:160
	v_mov_b32_e32 v16, v41
	v_pk_fma_f32 v[42:43], v[44:45], v[16:17], v[38:39] op_sel:[1,0,0] op_sel_hi:[0,0,1]
	ds_read_b128 v[38:41], v33 offset:176
	s_waitcnt lgkmcnt(2)
	v_xor_b32_e32 v45, 0x80000000, v23
	v_mov_b32_e32 v44, v22
	s_waitcnt lgkmcnt(1)
	v_pk_fma_f32 v[42:43], v[44:45], v[34:35], v[42:43] op_sel_hi:[1,0,1]
	v_pk_fma_f32 v[22:23], v[22:23], v[34:35], v[42:43] op_sel:[1,1,0] op_sel_hi:[0,1,1]
	ds_read2_b64 v[42:45], v46 offset0:192 offset1:224
	v_xor_b32_e32 v35, 0x80000000, v25
	v_mov_b32_e32 v34, v24
	v_pk_fma_f32 v[22:23], v[34:35], v[36:37], v[22:23] op_sel_hi:[1,0,1]
	v_mov_b32_e32 v16, v37
	v_pk_fma_f32 v[22:23], v[24:25], v[16:17], v[22:23] op_sel:[1,0,0] op_sel_hi:[0,0,1]
	s_waitcnt lgkmcnt(0)
	v_xor_b32_e32 v25, 0x80000000, v43
	v_mov_b32_e32 v24, v42
	v_pk_fma_f32 v[22:23], v[24:25], v[38:39], v[22:23] op_sel_hi:[1,0,1]
	v_add_u32_e32 v46, 0x1800, v32
	v_pk_fma_f32 v[34:35], v[42:43], v[38:39], v[22:23] op_sel:[1,1,0] op_sel_hi:[0,1,1]
	v_xor_b32_e32 v37, 0x80000000, v45
	v_mov_b32_e32 v36, v44
	ds_read2_b64 v[22:25], v46 offset1:32
	v_pk_fma_f32 v[38:39], v[36:37], v[40:41], v[34:35] op_sel_hi:[1,0,1]
	ds_read_b128 v[34:37], v33 offset:192
	v_mov_b32_e32 v16, v41
	v_pk_fma_f32 v[42:43], v[44:45], v[16:17], v[38:39] op_sel:[1,0,0] op_sel_hi:[0,0,1]
	ds_read_b128 v[38:41], v33 offset:208
	s_waitcnt lgkmcnt(2)
	v_xor_b32_e32 v45, 0x80000000, v23
	v_mov_b32_e32 v44, v22
	s_waitcnt lgkmcnt(1)
	v_pk_fma_f32 v[42:43], v[44:45], v[34:35], v[42:43] op_sel_hi:[1,0,1]
	v_pk_fma_f32 v[22:23], v[22:23], v[34:35], v[42:43] op_sel:[1,1,0] op_sel_hi:[0,1,1]
	ds_read2_b64 v[42:45], v46 offset0:64 offset1:96
	v_xor_b32_e32 v35, 0x80000000, v25
	v_mov_b32_e32 v34, v24
	v_pk_fma_f32 v[22:23], v[34:35], v[36:37], v[22:23] op_sel_hi:[1,0,1]
	v_mov_b32_e32 v16, v37
	v_pk_fma_f32 v[22:23], v[24:25], v[16:17], v[22:23] op_sel:[1,0,0] op_sel_hi:[0,0,1]
	s_waitcnt lgkmcnt(0)
	v_xor_b32_e32 v25, 0x80000000, v43
	v_mov_b32_e32 v24, v42
	v_pk_fma_f32 v[22:23], v[24:25], v[38:39], v[22:23] op_sel_hi:[1,0,1]
	v_pk_fma_f32 v[34:35], v[42:43], v[38:39], v[22:23] op_sel:[1,1,0] op_sel_hi:[0,1,1]
	v_xor_b32_e32 v37, 0x80000000, v45
	v_mov_b32_e32 v36, v44
	ds_read2_b64 v[22:25], v46 offset0:128 offset1:160
	v_pk_fma_f32 v[38:39], v[36:37], v[40:41], v[34:35] op_sel_hi:[1,0,1]
	ds_read_b128 v[34:37], v33 offset:224
	v_mov_b32_e32 v16, v41
	v_pk_fma_f32 v[42:43], v[44:45], v[16:17], v[38:39] op_sel:[1,0,0] op_sel_hi:[0,0,1]
	ds_read_b128 v[38:41], v33 offset:240
	s_waitcnt lgkmcnt(2)
	v_xor_b32_e32 v45, 0x80000000, v23
	v_mov_b32_e32 v44, v22
	s_waitcnt lgkmcnt(1)
	v_pk_fma_f32 v[42:43], v[44:45], v[34:35], v[42:43] op_sel_hi:[1,0,1]
	v_pk_fma_f32 v[22:23], v[22:23], v[34:35], v[42:43] op_sel:[1,1,0] op_sel_hi:[0,1,1]
	ds_read2_b64 v[42:45], v46 offset0:192 offset1:224
	v_xor_b32_e32 v35, 0x80000000, v25
	v_mov_b32_e32 v34, v24
	v_pk_fma_f32 v[22:23], v[34:35], v[36:37], v[22:23] op_sel_hi:[1,0,1]
	v_mov_b32_e32 v16, v37
	v_pk_fma_f32 v[22:23], v[24:25], v[16:17], v[22:23] op_sel:[1,0,0] op_sel_hi:[0,0,1]
	s_waitcnt lgkmcnt(0)
	v_xor_b32_e32 v25, 0x80000000, v43
	v_mov_b32_e32 v24, v42
	v_pk_fma_f32 v[22:23], v[24:25], v[38:39], v[22:23] op_sel_hi:[1,0,1]
	v_pk_fma_f32 v[22:23], v[42:43], v[38:39], v[22:23] op_sel:[1,1,0] op_sel_hi:[0,1,1]
	v_xor_b32_e32 v25, 0x80000000, v45
	v_mov_b32_e32 v24, v44
	v_pk_fma_f32 v[22:23], v[24:25], v[40:41], v[22:23] op_sel_hi:[1,0,1]
	v_mov_b32_e32 v16, v41
	v_pk_fma_f32 v[22:23], v[44:45], v[16:17], v[22:23] op_sel:[1,0,0] op_sel_hi:[0,0,1]
.LBB6_49:                               ;   in Loop: Header=BB6_20 Depth=3
	s_cbranch_execnz .LBB6_51
.LBB6_50:                               ;   in Loop: Header=BB6_20 Depth=3
	ds_read2_b64 v[22:25], v32 offset1:32
	ds_read_b128 v[34:37], v33
	ds_read_b128 v[38:41], v33 offset:16
	ds_read_b128 v[42:45], v33 offset:32
	;; [unrolled: 1-line block ×3, first 2 shown]
	ds_read2_b64 v[50:53], v32 offset0:64 offset1:96
	s_waitcnt lgkmcnt(4)
	v_pk_fma_f32 v[54:55], v[22:23], v[34:35], v[20:21] op_sel_hi:[1,0,1]
	v_pk_fma_f32 v[22:23], v[22:23], v[34:35], v[54:55] op_sel:[1,1,0] op_sel_hi:[0,1,1] neg_hi:[0,1,0]
	v_pk_fma_f32 v[22:23], v[24:25], v[36:37], v[22:23] op_sel_hi:[1,0,1]
	v_mov_b32_e32 v16, v37
	v_pk_fma_f32 v[22:23], v[24:25], v[16:17], v[22:23] op_sel:[1,0,0] op_sel_hi:[0,0,1] neg_hi:[0,1,0]
	s_waitcnt lgkmcnt(0)
	v_pk_fma_f32 v[34:35], v[50:51], v[38:39], v[22:23] op_sel_hi:[1,0,1]
	ds_read2_b64 v[22:25], v32 offset0:128 offset1:160
	v_pk_fma_f32 v[34:35], v[50:51], v[38:39], v[34:35] op_sel:[1,1,0] op_sel_hi:[0,1,1] neg_hi:[0,1,0]
	v_pk_fma_f32 v[34:35], v[52:53], v[40:41], v[34:35] op_sel_hi:[1,0,1]
	v_mov_b32_e32 v16, v41
	v_pk_fma_f32 v[34:35], v[52:53], v[16:17], v[34:35] op_sel:[1,0,0] op_sel_hi:[0,0,1] neg_hi:[0,1,0]
	s_waitcnt lgkmcnt(0)
	v_pk_fma_f32 v[38:39], v[22:23], v[42:43], v[34:35] op_sel_hi:[1,0,1]
	ds_read2_b64 v[34:37], v32 offset0:192 offset1:224
	v_pk_fma_f32 v[22:23], v[22:23], v[42:43], v[38:39] op_sel:[1,1,0] op_sel_hi:[0,1,1] neg_hi:[0,1,0]
	v_pk_fma_f32 v[22:23], v[24:25], v[44:45], v[22:23] op_sel_hi:[1,0,1]
	v_mov_b32_e32 v16, v45
	v_pk_fma_f32 v[22:23], v[24:25], v[16:17], v[22:23] op_sel:[1,0,0] op_sel_hi:[0,0,1] neg_hi:[0,1,0]
	s_waitcnt lgkmcnt(0)
	v_pk_fma_f32 v[22:23], v[34:35], v[46:47], v[22:23] op_sel_hi:[1,0,1]
	v_add_u32_e32 v50, 0x800, v32
	v_pk_fma_f32 v[34:35], v[34:35], v[46:47], v[22:23] op_sel:[1,1,0] op_sel_hi:[0,1,1] neg_hi:[0,1,0]
	ds_read2_b64 v[22:25], v50 offset1:32
	ds_read_b128 v[38:41], v33 offset:64
	v_pk_fma_f32 v[34:35], v[36:37], v[48:49], v[34:35] op_sel_hi:[1,0,1]
	v_mov_b32_e32 v16, v49
	v_pk_fma_f32 v[42:43], v[36:37], v[16:17], v[34:35] op_sel:[1,0,0] op_sel_hi:[0,0,1] neg_hi:[0,1,0]
	ds_read_b128 v[34:37], v33 offset:80
	s_waitcnt lgkmcnt(1)
	v_pk_fma_f32 v[46:47], v[22:23], v[38:39], v[42:43] op_sel_hi:[1,0,1]
	ds_read2_b64 v[42:45], v50 offset0:64 offset1:96
	v_pk_fma_f32 v[22:23], v[22:23], v[38:39], v[46:47] op_sel:[1,1,0] op_sel_hi:[0,1,1] neg_hi:[0,1,0]
	v_pk_fma_f32 v[22:23], v[24:25], v[40:41], v[22:23] op_sel_hi:[1,0,1]
	v_mov_b32_e32 v16, v41
	v_pk_fma_f32 v[22:23], v[24:25], v[16:17], v[22:23] op_sel:[1,0,0] op_sel_hi:[0,0,1] neg_hi:[0,1,0]
	s_waitcnt lgkmcnt(0)
	v_pk_fma_f32 v[22:23], v[42:43], v[34:35], v[22:23] op_sel_hi:[1,0,1]
	v_pk_fma_f32 v[34:35], v[42:43], v[34:35], v[22:23] op_sel:[1,1,0] op_sel_hi:[0,1,1] neg_hi:[0,1,0]
	ds_read2_b64 v[22:25], v50 offset0:128 offset1:160
	ds_read_b128 v[38:41], v33 offset:96
	v_pk_fma_f32 v[34:35], v[44:45], v[36:37], v[34:35] op_sel_hi:[1,0,1]
	v_mov_b32_e32 v16, v37
	v_pk_fma_f32 v[42:43], v[44:45], v[16:17], v[34:35] op_sel:[1,0,0] op_sel_hi:[0,0,1] neg_hi:[0,1,0]
	ds_read_b128 v[34:37], v33 offset:112
	s_waitcnt lgkmcnt(1)
	v_pk_fma_f32 v[46:47], v[22:23], v[38:39], v[42:43] op_sel_hi:[1,0,1]
	ds_read2_b64 v[42:45], v50 offset0:192 offset1:224
	v_pk_fma_f32 v[22:23], v[22:23], v[38:39], v[46:47] op_sel:[1,1,0] op_sel_hi:[0,1,1] neg_hi:[0,1,0]
	v_pk_fma_f32 v[22:23], v[24:25], v[40:41], v[22:23] op_sel_hi:[1,0,1]
	v_mov_b32_e32 v16, v41
	v_pk_fma_f32 v[22:23], v[24:25], v[16:17], v[22:23] op_sel:[1,0,0] op_sel_hi:[0,0,1] neg_hi:[0,1,0]
	s_waitcnt lgkmcnt(0)
	v_pk_fma_f32 v[22:23], v[42:43], v[34:35], v[22:23] op_sel_hi:[1,0,1]
	v_add_u32_e32 v48, 0x1000, v32
	v_pk_fma_f32 v[34:35], v[42:43], v[34:35], v[22:23] op_sel:[1,1,0] op_sel_hi:[0,1,1] neg_hi:[0,1,0]
	ds_read2_b64 v[22:25], v48 offset1:32
	ds_read_b128 v[38:41], v33 offset:128
	v_pk_fma_f32 v[34:35], v[44:45], v[36:37], v[34:35] op_sel_hi:[1,0,1]
	v_mov_b32_e32 v16, v37
	v_pk_fma_f32 v[42:43], v[44:45], v[16:17], v[34:35] op_sel:[1,0,0] op_sel_hi:[0,0,1] neg_hi:[0,1,0]
	ds_read_b128 v[34:37], v33 offset:144
	s_waitcnt lgkmcnt(1)
	v_pk_fma_f32 v[46:47], v[22:23], v[38:39], v[42:43] op_sel_hi:[1,0,1]
	ds_read2_b64 v[42:45], v48 offset0:64 offset1:96
	v_pk_fma_f32 v[22:23], v[22:23], v[38:39], v[46:47] op_sel:[1,1,0] op_sel_hi:[0,1,1] neg_hi:[0,1,0]
	v_pk_fma_f32 v[22:23], v[24:25], v[40:41], v[22:23] op_sel_hi:[1,0,1]
	v_mov_b32_e32 v16, v41
	v_pk_fma_f32 v[22:23], v[24:25], v[16:17], v[22:23] op_sel:[1,0,0] op_sel_hi:[0,0,1] neg_hi:[0,1,0]
	s_waitcnt lgkmcnt(0)
	v_pk_fma_f32 v[22:23], v[42:43], v[34:35], v[22:23] op_sel_hi:[1,0,1]
	v_pk_fma_f32 v[34:35], v[42:43], v[34:35], v[22:23] op_sel:[1,1,0] op_sel_hi:[0,1,1] neg_hi:[0,1,0]
	ds_read2_b64 v[22:25], v48 offset0:128 offset1:160
	ds_read_b128 v[38:41], v33 offset:160
	v_pk_fma_f32 v[34:35], v[44:45], v[36:37], v[34:35] op_sel_hi:[1,0,1]
	v_mov_b32_e32 v16, v37
	v_pk_fma_f32 v[42:43], v[44:45], v[16:17], v[34:35] op_sel:[1,0,0] op_sel_hi:[0,0,1] neg_hi:[0,1,0]
	ds_read_b128 v[34:37], v33 offset:176
	;; [unrolled: 33-line block ×3, first 2 shown]
	s_waitcnt lgkmcnt(1)
	v_pk_fma_f32 v[46:47], v[22:23], v[38:39], v[42:43] op_sel_hi:[1,0,1]
	ds_read2_b64 v[42:45], v48 offset0:192 offset1:224
	v_pk_fma_f32 v[22:23], v[22:23], v[38:39], v[46:47] op_sel:[1,1,0] op_sel_hi:[0,1,1] neg_hi:[0,1,0]
	v_pk_fma_f32 v[22:23], v[24:25], v[40:41], v[22:23] op_sel_hi:[1,0,1]
	v_mov_b32_e32 v16, v41
	v_pk_fma_f32 v[22:23], v[24:25], v[16:17], v[22:23] op_sel:[1,0,0] op_sel_hi:[0,0,1] neg_hi:[0,1,0]
	s_waitcnt lgkmcnt(0)
	v_pk_fma_f32 v[22:23], v[42:43], v[34:35], v[22:23] op_sel_hi:[1,0,1]
	v_pk_fma_f32 v[22:23], v[42:43], v[34:35], v[22:23] op_sel:[1,1,0] op_sel_hi:[0,1,1] neg_hi:[0,1,0]
	v_pk_fma_f32 v[22:23], v[44:45], v[36:37], v[22:23] op_sel_hi:[1,0,1]
	v_mov_b32_e32 v16, v37
	v_pk_fma_f32 v[22:23], v[44:45], v[16:17], v[22:23] op_sel:[1,0,0] op_sel_hi:[0,0,1] neg_hi:[0,1,0]
.LBB6_51:                               ;   in Loop: Header=BB6_20 Depth=3
	s_cbranch_execnz .LBB6_18
.LBB6_52:                               ;   in Loop: Header=BB6_20 Depth=3
	ds_read2_b64 v[22:25], v32 offset1:32
	ds_read_b128 v[34:37], v33
	ds_read_b128 v[38:41], v33 offset:16
	ds_read_b128 v[42:45], v33 offset:32
	;; [unrolled: 1-line block ×3, first 2 shown]
	s_waitcnt lgkmcnt(4)
	v_xor_b32_e32 v51, 0x80000000, v23
	v_mov_b32_e32 v50, v22
	s_waitcnt lgkmcnt(3)
	v_pk_fma_f32 v[20:21], v[50:51], v[34:35], v[20:21] op_sel_hi:[1,0,1]
	v_pk_fma_f32 v[34:35], v[22:23], v[34:35], v[20:21] op_sel:[1,1,0] op_sel_hi:[0,1,1] neg_lo:[0,1,0] neg_hi:[0,1,0]
	ds_read2_b64 v[20:23], v32 offset0:64 offset1:96
	v_xor_b32_e32 v51, 0x80000000, v25
	v_mov_b32_e32 v50, v24
	v_pk_fma_f32 v[34:35], v[50:51], v[36:37], v[34:35] op_sel_hi:[1,0,1]
	v_mov_b32_e32 v16, v37
	v_pk_fma_f32 v[24:25], v[24:25], v[16:17], v[34:35] op_sel:[1,0,0] op_sel_hi:[0,0,1] neg_lo:[0,1,0] neg_hi:[0,1,0]
	s_waitcnt lgkmcnt(0)
	v_xor_b32_e32 v35, 0x80000000, v21
	v_mov_b32_e32 v34, v20
	v_pk_fma_f32 v[24:25], v[34:35], v[38:39], v[24:25] op_sel_hi:[1,0,1]
	ds_read2_b64 v[34:37], v32 offset0:128 offset1:160
	v_pk_fma_f32 v[20:21], v[20:21], v[38:39], v[24:25] op_sel:[1,1,0] op_sel_hi:[0,1,1] neg_lo:[0,1,0] neg_hi:[0,1,0]
	v_xor_b32_e32 v25, 0x80000000, v23
	v_mov_b32_e32 v24, v22
	v_pk_fma_f32 v[20:21], v[24:25], v[40:41], v[20:21] op_sel_hi:[1,0,1]
	v_mov_b32_e32 v16, v41
	v_pk_fma_f32 v[20:21], v[22:23], v[16:17], v[20:21] op_sel:[1,0,0] op_sel_hi:[0,0,1] neg_lo:[0,1,0] neg_hi:[0,1,0]
	s_waitcnt lgkmcnt(0)
	v_xor_b32_e32 v23, 0x80000000, v35
	v_mov_b32_e32 v22, v34
	v_pk_fma_f32 v[20:21], v[22:23], v[42:43], v[20:21] op_sel_hi:[1,0,1]
	v_pk_fma_f32 v[24:25], v[34:35], v[42:43], v[20:21] op_sel:[1,1,0] op_sel_hi:[0,1,1] neg_lo:[0,1,0] neg_hi:[0,1,0]
	ds_read2_b64 v[20:23], v32 offset0:192 offset1:224
	v_xor_b32_e32 v35, 0x80000000, v37
	v_mov_b32_e32 v34, v36
	v_pk_fma_f32 v[24:25], v[34:35], v[44:45], v[24:25] op_sel_hi:[1,0,1]
	v_mov_b32_e32 v16, v45
	v_pk_fma_f32 v[24:25], v[36:37], v[16:17], v[24:25] op_sel:[1,0,0] op_sel_hi:[0,0,1] neg_lo:[0,1,0] neg_hi:[0,1,0]
	s_waitcnt lgkmcnt(0)
	v_xor_b32_e32 v35, 0x80000000, v21
	v_mov_b32_e32 v34, v20
	v_pk_fma_f32 v[24:25], v[34:35], v[46:47], v[24:25] op_sel_hi:[1,0,1]
	v_pk_fma_f32 v[20:21], v[20:21], v[46:47], v[24:25] op_sel:[1,1,0] op_sel_hi:[0,1,1] neg_lo:[0,1,0] neg_hi:[0,1,0]
	v_add_u32_e32 v46, 0x800, v32
	ds_read2_b64 v[34:37], v46 offset1:32
	ds_read_b128 v[38:41], v33 offset:64
	v_xor_b32_e32 v25, 0x80000000, v23
	v_mov_b32_e32 v24, v22
	v_pk_fma_f32 v[20:21], v[24:25], v[48:49], v[20:21] op_sel_hi:[1,0,1]
	v_mov_b32_e32 v16, v49
	v_pk_fma_f32 v[24:25], v[22:23], v[16:17], v[20:21] op_sel:[1,0,0] op_sel_hi:[0,0,1] neg_lo:[0,1,0] neg_hi:[0,1,0]
	ds_read_b128 v[20:23], v33 offset:80
	s_waitcnt lgkmcnt(2)
	v_xor_b32_e32 v43, 0x80000000, v35
	v_mov_b32_e32 v42, v34
	s_waitcnt lgkmcnt(1)
	v_pk_fma_f32 v[24:25], v[42:43], v[38:39], v[24:25] op_sel_hi:[1,0,1]
	ds_read2_b64 v[42:45], v46 offset0:64 offset1:96
	v_pk_fma_f32 v[24:25], v[34:35], v[38:39], v[24:25] op_sel:[1,1,0] op_sel_hi:[0,1,1] neg_lo:[0,1,0] neg_hi:[0,1,0]
	v_xor_b32_e32 v35, 0x80000000, v37
	v_mov_b32_e32 v34, v36
	v_pk_fma_f32 v[24:25], v[34:35], v[40:41], v[24:25] op_sel_hi:[1,0,1]
	v_mov_b32_e32 v16, v41
	v_pk_fma_f32 v[24:25], v[36:37], v[16:17], v[24:25] op_sel:[1,0,0] op_sel_hi:[0,0,1] neg_lo:[0,1,0] neg_hi:[0,1,0]
	s_waitcnt lgkmcnt(0)
	v_xor_b32_e32 v35, 0x80000000, v43
	v_mov_b32_e32 v34, v42
	v_pk_fma_f32 v[24:25], v[34:35], v[20:21], v[24:25] op_sel_hi:[1,0,1]
	v_pk_fma_f32 v[20:21], v[42:43], v[20:21], v[24:25] op_sel:[1,1,0] op_sel_hi:[0,1,1] neg_lo:[0,1,0] neg_hi:[0,1,0]
	v_xor_b32_e32 v25, 0x80000000, v45
	v_mov_b32_e32 v24, v44
	ds_read2_b64 v[34:37], v46 offset0:128 offset1:160
	v_pk_fma_f32 v[24:25], v[24:25], v[22:23], v[20:21] op_sel_hi:[1,0,1]
	v_mov_b32_e32 v16, v23
	ds_read_b128 v[20:23], v33 offset:96
	ds_read_b128 v[38:41], v33 offset:112
	v_pk_fma_f32 v[24:25], v[44:45], v[16:17], v[24:25] op_sel:[1,0,0] op_sel_hi:[0,0,1] neg_lo:[0,1,0] neg_hi:[0,1,0]
	s_waitcnt lgkmcnt(2)
	v_xor_b32_e32 v43, 0x80000000, v35
	v_mov_b32_e32 v42, v34
	s_waitcnt lgkmcnt(1)
	v_pk_fma_f32 v[24:25], v[42:43], v[20:21], v[24:25] op_sel_hi:[1,0,1]
	ds_read2_b64 v[42:45], v46 offset0:192 offset1:224
	v_pk_fma_f32 v[20:21], v[34:35], v[20:21], v[24:25] op_sel:[1,1,0] op_sel_hi:[0,1,1] neg_lo:[0,1,0] neg_hi:[0,1,0]
	v_xor_b32_e32 v25, 0x80000000, v37
	v_mov_b32_e32 v24, v36
	v_pk_fma_f32 v[20:21], v[24:25], v[22:23], v[20:21] op_sel_hi:[1,0,1]
	v_mov_b32_e32 v16, v23
	v_pk_fma_f32 v[20:21], v[36:37], v[16:17], v[20:21] op_sel:[1,0,0] op_sel_hi:[0,0,1] neg_lo:[0,1,0] neg_hi:[0,1,0]
	s_waitcnt lgkmcnt(0)
	v_xor_b32_e32 v23, 0x80000000, v43
	v_mov_b32_e32 v22, v42
	v_pk_fma_f32 v[20:21], v[22:23], v[38:39], v[20:21] op_sel_hi:[1,0,1]
	v_add_u32_e32 v46, 0x1000, v32
	v_pk_fma_f32 v[24:25], v[42:43], v[38:39], v[20:21] op_sel:[1,1,0] op_sel_hi:[0,1,1] neg_lo:[0,1,0] neg_hi:[0,1,0]
	v_xor_b32_e32 v35, 0x80000000, v45
	v_mov_b32_e32 v34, v44
	ds_read2_b64 v[20:23], v46 offset1:32
	v_pk_fma_f32 v[24:25], v[34:35], v[40:41], v[24:25] op_sel_hi:[1,0,1]
	ds_read_b128 v[34:37], v33 offset:128
	v_mov_b32_e32 v16, v41
	ds_read_b128 v[38:41], v33 offset:144
	v_pk_fma_f32 v[24:25], v[44:45], v[16:17], v[24:25] op_sel:[1,0,0] op_sel_hi:[0,0,1] neg_lo:[0,1,0] neg_hi:[0,1,0]
	s_waitcnt lgkmcnt(2)
	v_xor_b32_e32 v43, 0x80000000, v21
	v_mov_b32_e32 v42, v20
	s_waitcnt lgkmcnt(1)
	v_pk_fma_f32 v[24:25], v[42:43], v[34:35], v[24:25] op_sel_hi:[1,0,1]
	ds_read2_b64 v[42:45], v46 offset0:64 offset1:96
	v_pk_fma_f32 v[20:21], v[20:21], v[34:35], v[24:25] op_sel:[1,1,0] op_sel_hi:[0,1,1] neg_lo:[0,1,0] neg_hi:[0,1,0]
	v_xor_b32_e32 v25, 0x80000000, v23
	v_mov_b32_e32 v24, v22
	v_pk_fma_f32 v[20:21], v[24:25], v[36:37], v[20:21] op_sel_hi:[1,0,1]
	v_mov_b32_e32 v16, v37
	v_pk_fma_f32 v[20:21], v[22:23], v[16:17], v[20:21] op_sel:[1,0,0] op_sel_hi:[0,0,1] neg_lo:[0,1,0] neg_hi:[0,1,0]
	s_waitcnt lgkmcnt(0)
	v_xor_b32_e32 v23, 0x80000000, v43
	v_mov_b32_e32 v22, v42
	v_pk_fma_f32 v[20:21], v[22:23], v[38:39], v[20:21] op_sel_hi:[1,0,1]
	v_pk_fma_f32 v[24:25], v[42:43], v[38:39], v[20:21] op_sel:[1,1,0] op_sel_hi:[0,1,1] neg_lo:[0,1,0] neg_hi:[0,1,0]
	v_xor_b32_e32 v35, 0x80000000, v45
	v_mov_b32_e32 v34, v44
	ds_read2_b64 v[20:23], v46 offset0:128 offset1:160
	v_pk_fma_f32 v[24:25], v[34:35], v[40:41], v[24:25] op_sel_hi:[1,0,1]
	ds_read_b128 v[34:37], v33 offset:160
	v_mov_b32_e32 v16, v41
	ds_read_b128 v[38:41], v33 offset:176
	v_pk_fma_f32 v[24:25], v[44:45], v[16:17], v[24:25] op_sel:[1,0,0] op_sel_hi:[0,0,1] neg_lo:[0,1,0] neg_hi:[0,1,0]
	s_waitcnt lgkmcnt(2)
	v_xor_b32_e32 v43, 0x80000000, v21
	v_mov_b32_e32 v42, v20
	s_waitcnt lgkmcnt(1)
	v_pk_fma_f32 v[24:25], v[42:43], v[34:35], v[24:25] op_sel_hi:[1,0,1]
	ds_read2_b64 v[42:45], v46 offset0:192 offset1:224
	v_pk_fma_f32 v[20:21], v[20:21], v[34:35], v[24:25] op_sel:[1,1,0] op_sel_hi:[0,1,1] neg_lo:[0,1,0] neg_hi:[0,1,0]
	v_xor_b32_e32 v25, 0x80000000, v23
	v_mov_b32_e32 v24, v22
	v_pk_fma_f32 v[20:21], v[24:25], v[36:37], v[20:21] op_sel_hi:[1,0,1]
	v_mov_b32_e32 v16, v37
	v_pk_fma_f32 v[20:21], v[22:23], v[16:17], v[20:21] op_sel:[1,0,0] op_sel_hi:[0,0,1] neg_lo:[0,1,0] neg_hi:[0,1,0]
	s_waitcnt lgkmcnt(0)
	v_xor_b32_e32 v23, 0x80000000, v43
	v_mov_b32_e32 v22, v42
	v_pk_fma_f32 v[20:21], v[22:23], v[38:39], v[20:21] op_sel_hi:[1,0,1]
	v_add_u32_e32 v46, 0x1800, v32
	v_pk_fma_f32 v[24:25], v[42:43], v[38:39], v[20:21] op_sel:[1,1,0] op_sel_hi:[0,1,1] neg_lo:[0,1,0] neg_hi:[0,1,0]
	v_xor_b32_e32 v35, 0x80000000, v45
	v_mov_b32_e32 v34, v44
	ds_read2_b64 v[20:23], v46 offset1:32
	v_pk_fma_f32 v[24:25], v[34:35], v[40:41], v[24:25] op_sel_hi:[1,0,1]
	ds_read_b128 v[34:37], v33 offset:192
	v_mov_b32_e32 v16, v41
	ds_read_b128 v[38:41], v33 offset:208
	v_pk_fma_f32 v[24:25], v[44:45], v[16:17], v[24:25] op_sel:[1,0,0] op_sel_hi:[0,0,1] neg_lo:[0,1,0] neg_hi:[0,1,0]
	s_waitcnt lgkmcnt(2)
	v_xor_b32_e32 v43, 0x80000000, v21
	v_mov_b32_e32 v42, v20
	s_waitcnt lgkmcnt(1)
	v_pk_fma_f32 v[24:25], v[42:43], v[34:35], v[24:25] op_sel_hi:[1,0,1]
	ds_read2_b64 v[42:45], v46 offset0:64 offset1:96
	v_pk_fma_f32 v[20:21], v[20:21], v[34:35], v[24:25] op_sel:[1,1,0] op_sel_hi:[0,1,1] neg_lo:[0,1,0] neg_hi:[0,1,0]
	v_xor_b32_e32 v25, 0x80000000, v23
	v_mov_b32_e32 v24, v22
	v_pk_fma_f32 v[20:21], v[24:25], v[36:37], v[20:21] op_sel_hi:[1,0,1]
	v_mov_b32_e32 v16, v37
	v_pk_fma_f32 v[20:21], v[22:23], v[16:17], v[20:21] op_sel:[1,0,0] op_sel_hi:[0,0,1] neg_lo:[0,1,0] neg_hi:[0,1,0]
	s_waitcnt lgkmcnt(0)
	v_xor_b32_e32 v23, 0x80000000, v43
	v_mov_b32_e32 v22, v42
	v_pk_fma_f32 v[20:21], v[22:23], v[38:39], v[20:21] op_sel_hi:[1,0,1]
	v_pk_fma_f32 v[24:25], v[42:43], v[38:39], v[20:21] op_sel:[1,1,0] op_sel_hi:[0,1,1] neg_lo:[0,1,0] neg_hi:[0,1,0]
	v_xor_b32_e32 v35, 0x80000000, v45
	v_mov_b32_e32 v34, v44
	ds_read2_b64 v[20:23], v46 offset0:128 offset1:160
	v_pk_fma_f32 v[24:25], v[34:35], v[40:41], v[24:25] op_sel_hi:[1,0,1]
	ds_read_b128 v[34:37], v33 offset:224
	v_mov_b32_e32 v16, v41
	ds_read_b128 v[38:41], v33 offset:240
	v_pk_fma_f32 v[24:25], v[44:45], v[16:17], v[24:25] op_sel:[1,0,0] op_sel_hi:[0,0,1] neg_lo:[0,1,0] neg_hi:[0,1,0]
	s_waitcnt lgkmcnt(2)
	v_xor_b32_e32 v43, 0x80000000, v21
	v_mov_b32_e32 v42, v20
	s_waitcnt lgkmcnt(1)
	v_pk_fma_f32 v[24:25], v[42:43], v[34:35], v[24:25] op_sel_hi:[1,0,1]
	ds_read2_b64 v[42:45], v46 offset0:192 offset1:224
	v_pk_fma_f32 v[20:21], v[20:21], v[34:35], v[24:25] op_sel:[1,1,0] op_sel_hi:[0,1,1] neg_lo:[0,1,0] neg_hi:[0,1,0]
	v_xor_b32_e32 v25, 0x80000000, v23
	v_mov_b32_e32 v24, v22
	v_pk_fma_f32 v[20:21], v[24:25], v[36:37], v[20:21] op_sel_hi:[1,0,1]
	v_mov_b32_e32 v16, v37
	v_pk_fma_f32 v[20:21], v[22:23], v[16:17], v[20:21] op_sel:[1,0,0] op_sel_hi:[0,0,1] neg_lo:[0,1,0] neg_hi:[0,1,0]
	s_waitcnt lgkmcnt(0)
	v_xor_b32_e32 v23, 0x80000000, v43
	v_mov_b32_e32 v22, v42
	v_pk_fma_f32 v[20:21], v[22:23], v[38:39], v[20:21] op_sel_hi:[1,0,1]
	v_pk_fma_f32 v[20:21], v[42:43], v[38:39], v[20:21] op_sel:[1,1,0] op_sel_hi:[0,1,1] neg_lo:[0,1,0] neg_hi:[0,1,0]
	v_xor_b32_e32 v23, 0x80000000, v45
	v_mov_b32_e32 v22, v44
	v_pk_fma_f32 v[20:21], v[22:23], v[40:41], v[20:21] op_sel_hi:[1,0,1]
	v_mov_b32_e32 v16, v41
	v_pk_fma_f32 v[22:23], v[44:45], v[16:17], v[20:21] op_sel:[1,0,0] op_sel_hi:[0,0,1] neg_lo:[0,1,0] neg_hi:[0,1,0]
	s_branch .LBB6_18
.LBB6_53:                               ;   in Loop: Header=BB6_14 Depth=1
	v_add_u32_e32 v15, s7, v18
	v_ashrrev_i32_e32 v16, 31, v15
	s_and_b64 vcc, exec, s[36:37]
	s_cbranch_vccz .LBB6_55
; %bb.54:                               ;   in Loop: Header=BB6_14 Depth=1
	v_mad_u64_u32 v[22:23], s[4:5], v15, s26, v[8:9]
	v_mul_lo_u32 v19, v15, s27
	v_mul_lo_u32 v24, v16, s26
	v_add3_u32 v23, v24, v23, v19
	s_cbranch_execz .LBB6_56
	s_branch .LBB6_57
.LBB6_55:                               ;   in Loop: Header=BB6_14 Depth=1
                                        ; implicit-def: $vgpr22_vgpr23
.LBB6_56:                               ;   in Loop: Header=BB6_14 Depth=1
	v_add_co_u32_e32 v22, vcc, v0, v15
	v_addc_co_u32_e32 v23, vcc, v1, v16, vcc
.LBB6_57:                               ;   in Loop: Header=BB6_14 Depth=1
	v_cmp_gt_i32_e32 vcc, s19, v18
	s_and_b64 s[44:45], s[38:39], vcc
	s_and_saveexec_b64 s[4:5], s[44:45]
	s_cbranch_execz .LBB6_13
; %bb.58:                               ;   in Loop: Header=BB6_14 Depth=1
	v_pk_mul_f32 v[18:19], v[20:21], v[10:11] op_sel:[1,0]
	v_lshlrev_b64 v[22:23], 3, v[22:23]
	v_pk_fma_f32 v[18:19], v[2:3], v[20:21], v[18:19] op_sel_hi:[1,0,1]
	s_and_saveexec_b64 s[44:45], s[40:41]
	s_xor_b64 s[44:45], exec, s[44:45]
	s_cbranch_execz .LBB6_60
; %bb.59:                               ;   in Loop: Header=BB6_14 Depth=1
	v_mov_b32_e32 v15, s25
	v_add_co_u32_e32 v20, vcc, s24, v22
	v_addc_co_u32_e32 v21, vcc, v15, v23, vcc
	global_load_dwordx2 v[22:23], v[20:21], off
	s_waitcnt vmcnt(0)
	v_pk_fma_f32 v[18:19], v[4:5], v[22:23], v[18:19] op_sel_hi:[1,0,1]
	v_pk_fma_f32 v[18:19], v[12:13], v[22:23], v[18:19] op_sel:[0,1,0]
	global_store_dwordx2 v[20:21], v[18:19], off
                                        ; implicit-def: $vgpr22_vgpr23
                                        ; implicit-def: $vgpr18_vgpr19
.LBB6_60:                               ;   in Loop: Header=BB6_14 Depth=1
	s_andn2_saveexec_b64 s[44:45], s[44:45]
	s_cbranch_execz .LBB6_13
; %bb.61:                               ;   in Loop: Header=BB6_14 Depth=1
	v_mov_b32_e32 v15, s25
	v_add_co_u32_e32 v20, vcc, s24, v22
	v_addc_co_u32_e32 v21, vcc, v15, v23, vcc
	global_store_dwordx2 v[20:21], v[18:19], off
	s_branch .LBB6_13
.LBB6_62:
	s_endpgm
.LBB6_63:
	v_pk_mov_b32 v[4:5], s[8:9], s[8:9] op_sel:[0,1]
	flat_load_dword v3, v[4:5] offset:4
	s_and_b64 vcc, exec, s[0:1]
	v_mov_b32_e32 v4, s2
	s_cbranch_vccnz .LBB6_4
.LBB6_64:
	v_pk_mov_b32 v[4:5], s[2:3], s[2:3] op_sel:[0,1]
	flat_load_dword v4, v[4:5]
	s_and_b64 vcc, exec, s[0:1]
	v_mov_b32_e32 v5, s3
	s_cbranch_vccz .LBB6_5
	s_branch .LBB6_6
	.section	.rodata,"a",@progbits
	.p2align	6, 0x0
	.amdhsa_kernel _ZN9rocsparseL30bellmm_general_blockdim_kernelILi32ELi32E21rocsparse_complex_numIfEiS2_S2_S2_EEv20rocsparse_operation_S3_20rocsparse_direction_T2_S5_NS_24const_host_device_scalarIT1_EES5_S5_PKS5_PKT3_PKT4_l16rocsparse_order_S8_PT5_lSH_21rocsparse_index_base_b
		.amdhsa_group_segment_fixed_size 16384
		.amdhsa_private_segment_fixed_size 0
		.amdhsa_kernarg_size 116
		.amdhsa_user_sgpr_count 6
		.amdhsa_user_sgpr_private_segment_buffer 1
		.amdhsa_user_sgpr_dispatch_ptr 0
		.amdhsa_user_sgpr_queue_ptr 0
		.amdhsa_user_sgpr_kernarg_segment_ptr 1
		.amdhsa_user_sgpr_dispatch_id 0
		.amdhsa_user_sgpr_flat_scratch_init 0
		.amdhsa_user_sgpr_kernarg_preload_length 0
		.amdhsa_user_sgpr_kernarg_preload_offset 0
		.amdhsa_user_sgpr_private_segment_size 0
		.amdhsa_uses_dynamic_stack 0
		.amdhsa_system_sgpr_private_segment_wavefront_offset 0
		.amdhsa_system_sgpr_workgroup_id_x 1
		.amdhsa_system_sgpr_workgroup_id_y 1
		.amdhsa_system_sgpr_workgroup_id_z 0
		.amdhsa_system_sgpr_workgroup_info 0
		.amdhsa_system_vgpr_workitem_id 1
		.amdhsa_next_free_vgpr 56
		.amdhsa_next_free_sgpr 58
		.amdhsa_accum_offset 56
		.amdhsa_reserve_vcc 1
		.amdhsa_reserve_flat_scratch 0
		.amdhsa_float_round_mode_32 0
		.amdhsa_float_round_mode_16_64 0
		.amdhsa_float_denorm_mode_32 3
		.amdhsa_float_denorm_mode_16_64 3
		.amdhsa_dx10_clamp 1
		.amdhsa_ieee_mode 1
		.amdhsa_fp16_overflow 0
		.amdhsa_tg_split 0
		.amdhsa_exception_fp_ieee_invalid_op 0
		.amdhsa_exception_fp_denorm_src 0
		.amdhsa_exception_fp_ieee_div_zero 0
		.amdhsa_exception_fp_ieee_overflow 0
		.amdhsa_exception_fp_ieee_underflow 0
		.amdhsa_exception_fp_ieee_inexact 0
		.amdhsa_exception_int_div_zero 0
	.end_amdhsa_kernel
	.section	.text._ZN9rocsparseL30bellmm_general_blockdim_kernelILi32ELi32E21rocsparse_complex_numIfEiS2_S2_S2_EEv20rocsparse_operation_S3_20rocsparse_direction_T2_S5_NS_24const_host_device_scalarIT1_EES5_S5_PKS5_PKT3_PKT4_l16rocsparse_order_S8_PT5_lSH_21rocsparse_index_base_b,"axG",@progbits,_ZN9rocsparseL30bellmm_general_blockdim_kernelILi32ELi32E21rocsparse_complex_numIfEiS2_S2_S2_EEv20rocsparse_operation_S3_20rocsparse_direction_T2_S5_NS_24const_host_device_scalarIT1_EES5_S5_PKS5_PKT3_PKT4_l16rocsparse_order_S8_PT5_lSH_21rocsparse_index_base_b,comdat
.Lfunc_end6:
	.size	_ZN9rocsparseL30bellmm_general_blockdim_kernelILi32ELi32E21rocsparse_complex_numIfEiS2_S2_S2_EEv20rocsparse_operation_S3_20rocsparse_direction_T2_S5_NS_24const_host_device_scalarIT1_EES5_S5_PKS5_PKT3_PKT4_l16rocsparse_order_S8_PT5_lSH_21rocsparse_index_base_b, .Lfunc_end6-_ZN9rocsparseL30bellmm_general_blockdim_kernelILi32ELi32E21rocsparse_complex_numIfEiS2_S2_S2_EEv20rocsparse_operation_S3_20rocsparse_direction_T2_S5_NS_24const_host_device_scalarIT1_EES5_S5_PKS5_PKT3_PKT4_l16rocsparse_order_S8_PT5_lSH_21rocsparse_index_base_b
                                        ; -- End function
	.section	.AMDGPU.csdata,"",@progbits
; Kernel info:
; codeLenInByte = 6168
; NumSgprs: 62
; NumVgprs: 56
; NumAgprs: 0
; TotalNumVgprs: 56
; ScratchSize: 0
; MemoryBound: 0
; FloatMode: 240
; IeeeMode: 1
; LDSByteSize: 16384 bytes/workgroup (compile time only)
; SGPRBlocks: 7
; VGPRBlocks: 6
; NumSGPRsForWavesPerEU: 62
; NumVGPRsForWavesPerEU: 56
; AccumOffset: 56
; Occupancy: 8
; WaveLimiterHint : 1
; COMPUTE_PGM_RSRC2:SCRATCH_EN: 0
; COMPUTE_PGM_RSRC2:USER_SGPR: 6
; COMPUTE_PGM_RSRC2:TRAP_HANDLER: 0
; COMPUTE_PGM_RSRC2:TGID_X_EN: 1
; COMPUTE_PGM_RSRC2:TGID_Y_EN: 1
; COMPUTE_PGM_RSRC2:TGID_Z_EN: 0
; COMPUTE_PGM_RSRC2:TIDIG_COMP_CNT: 1
; COMPUTE_PGM_RSRC3_GFX90A:ACCUM_OFFSET: 13
; COMPUTE_PGM_RSRC3_GFX90A:TG_SPLIT: 0
	.section	.text._ZN9rocsparseL30bellmm_general_blockdim_kernelILi32ELi32E21rocsparse_complex_numIfElS2_S2_S2_EEv20rocsparse_operation_S3_20rocsparse_direction_T2_S5_NS_24const_host_device_scalarIT1_EES5_S5_PKS5_PKT3_PKT4_l16rocsparse_order_S8_PT5_lSH_21rocsparse_index_base_b,"axG",@progbits,_ZN9rocsparseL30bellmm_general_blockdim_kernelILi32ELi32E21rocsparse_complex_numIfElS2_S2_S2_EEv20rocsparse_operation_S3_20rocsparse_direction_T2_S5_NS_24const_host_device_scalarIT1_EES5_S5_PKS5_PKT3_PKT4_l16rocsparse_order_S8_PT5_lSH_21rocsparse_index_base_b,comdat
	.globl	_ZN9rocsparseL30bellmm_general_blockdim_kernelILi32ELi32E21rocsparse_complex_numIfElS2_S2_S2_EEv20rocsparse_operation_S3_20rocsparse_direction_T2_S5_NS_24const_host_device_scalarIT1_EES5_S5_PKS5_PKT3_PKT4_l16rocsparse_order_S8_PT5_lSH_21rocsparse_index_base_b ; -- Begin function _ZN9rocsparseL30bellmm_general_blockdim_kernelILi32ELi32E21rocsparse_complex_numIfElS2_S2_S2_EEv20rocsparse_operation_S3_20rocsparse_direction_T2_S5_NS_24const_host_device_scalarIT1_EES5_S5_PKS5_PKT3_PKT4_l16rocsparse_order_S8_PT5_lSH_21rocsparse_index_base_b
	.p2align	8
	.type	_ZN9rocsparseL30bellmm_general_blockdim_kernelILi32ELi32E21rocsparse_complex_numIfElS2_S2_S2_EEv20rocsparse_operation_S3_20rocsparse_direction_T2_S5_NS_24const_host_device_scalarIT1_EES5_S5_PKS5_PKT3_PKT4_l16rocsparse_order_S8_PT5_lSH_21rocsparse_index_base_b,@function
_ZN9rocsparseL30bellmm_general_blockdim_kernelILi32ELi32E21rocsparse_complex_numIfElS2_S2_S2_EEv20rocsparse_operation_S3_20rocsparse_direction_T2_S5_NS_24const_host_device_scalarIT1_EES5_S5_PKS5_PKT3_PKT4_l16rocsparse_order_S8_PT5_lSH_21rocsparse_index_base_b: ; @_ZN9rocsparseL30bellmm_general_blockdim_kernelILi32ELi32E21rocsparse_complex_numIfElS2_S2_S2_EEv20rocsparse_operation_S3_20rocsparse_direction_T2_S5_NS_24const_host_device_scalarIT1_EES5_S5_PKS5_PKT3_PKT4_l16rocsparse_order_S8_PT5_lSH_21rocsparse_index_base_b
; %bb.0:
	s_load_dwordx4 s[24:27], s[4:5], 0x78
	s_load_dwordx8 s[12:19], s[4:5], 0x10
	s_load_dwordx2 s[2:3], s[4:5], 0x60
	s_mov_b32 s8, s7
	s_waitcnt lgkmcnt(0)
	s_bitcmp1_b32 s26, 0
	s_cselect_b64 s[0:1], -1, 0
	s_xor_b64 s[10:11], s[0:1], -1
	s_and_b64 vcc, exec, s[0:1]
	v_mov_b32_e32 v2, s16
	s_cbranch_vccnz .LBB7_2
; %bb.1:
	v_pk_mov_b32 v[2:3], s[16:17], s[16:17] op_sel:[0,1]
	flat_load_dword v2, v[2:3]
.LBB7_2:
	v_cndmask_b32_e64 v1, 0, 1, s[10:11]
	v_cmp_ne_u32_e64 s[0:1], 1, v1
	s_andn2_b64 vcc, exec, s[10:11]
	v_mov_b32_e32 v3, s17
	s_cbranch_vccz .LBB7_61
; %bb.3:
	s_and_b64 vcc, exec, s[0:1]
	v_mov_b32_e32 v4, s2
	s_cbranch_vccz .LBB7_62
.LBB7_4:
	s_and_b64 vcc, exec, s[0:1]
	v_mov_b32_e32 v5, s3
	s_cbranch_vccnz .LBB7_6
.LBB7_5:
	v_pk_mov_b32 v[6:7], s[2:3], s[2:3] op_sel:[0,1]
	flat_load_dword v5, v[6:7] offset:4
.LBB7_6:
	s_waitcnt vmcnt(0) lgkmcnt(0)
	v_and_b32_e32 v1, 0x7fffffff, v2
	v_cmp_eq_u32_e32 vcc, 0, v1
	v_cmp_eq_f32_e64 s[0:1], 0, v3
	s_and_b64 s[10:11], vcc, s[0:1]
	s_mov_b64 s[0:1], -1
	s_and_saveexec_b64 s[2:3], s[10:11]
; %bb.7:
	v_and_b32_e32 v1, 0x7fffffff, v5
	v_cmp_neq_f32_e32 vcc, 1.0, v4
	v_cmp_ne_u32_e64 s[0:1], 0, v1
	s_or_b64 s[0:1], vcc, s[0:1]
	s_orn2_b64 s[0:1], s[0:1], exec
; %bb.8:
	s_or_b64 exec, exec, s[2:3]
	s_and_saveexec_b64 s[2:3], s[0:1]
	s_cbranch_execz .LBB7_60
; %bb.9:
	s_load_dwordx2 s[26:27], s[4:5], 0x30
	s_mov_b32 s7, 0
	v_pk_mov_b32 v[6:7], s[12:13], s[12:13] op_sel:[0,1]
	v_cmp_ge_i64_e32 vcc, s[6:7], v[6:7]
	v_cmp_lt_i64_e64 s[2:3], s[6:7], v[6:7]
	s_mov_b64 s[28:29], 0
	s_cbranch_vccnz .LBB7_13
; %bb.10:
	s_waitcnt lgkmcnt(0)
	s_or_b64 s[0:1], s[18:19], s[26:27]
	s_mov_b32 s0, s7
	s_cmp_lg_u64 s[0:1], 0
	s_cbranch_scc0 .LBB7_63
; %bb.11:
	s_ashr_i32 s10, s27, 31
	s_add_u32 s0, s26, s10
	s_mov_b32 s11, s10
	s_addc_u32 s1, s27, s10
	s_xor_b64 s[20:21], s[0:1], s[10:11]
	v_cvt_f32_u32_e32 v1, s20
	v_cvt_f32_u32_e32 v6, s21
	s_sub_u32 s0, 0, s20
	s_subb_u32 s1, 0, s21
	v_madmk_f32 v1, v6, 0x4f800000, v1
	v_rcp_f32_e32 v1, v1
	v_mul_f32_e32 v1, 0x5f7ffffc, v1
	v_mul_f32_e32 v6, 0x2f800000, v1
	v_trunc_f32_e32 v6, v6
	v_madmk_f32 v1, v6, 0xcf800000, v1
	v_cvt_u32_f32_e32 v6, v6
	v_cvt_u32_f32_e32 v1, v1
	v_readfirstlane_b32 s7, v6
	v_readfirstlane_b32 s9, v1
	s_mul_i32 s22, s0, s7
	s_mul_hi_u32 s28, s0, s9
	s_mul_i32 s23, s1, s9
	s_add_i32 s22, s28, s22
	s_add_i32 s22, s22, s23
	s_mul_i32 s29, s0, s9
	s_mul_hi_u32 s23, s9, s22
	s_mul_i32 s28, s9, s22
	s_mul_hi_u32 s9, s9, s29
	s_add_u32 s9, s9, s28
	s_addc_u32 s23, 0, s23
	s_mul_hi_u32 s30, s7, s29
	s_mul_i32 s29, s7, s29
	s_add_u32 s9, s9, s29
	s_mul_hi_u32 s28, s7, s22
	s_addc_u32 s9, s23, s30
	s_addc_u32 s23, s28, 0
	s_mul_i32 s22, s7, s22
	s_add_u32 s9, s9, s22
	s_addc_u32 s22, 0, s23
	v_add_co_u32_e32 v1, vcc, s9, v1
	s_cmp_lg_u64 vcc, 0
	s_addc_u32 s7, s7, s22
	v_readfirstlane_b32 s22, v1
	s_mul_i32 s9, s0, s7
	s_mul_hi_u32 s23, s0, s22
	s_add_i32 s9, s23, s9
	s_mul_i32 s1, s1, s22
	s_add_i32 s9, s9, s1
	s_mul_i32 s0, s0, s22
	s_mul_hi_u32 s23, s7, s0
	s_mul_i32 s28, s7, s0
	s_mul_i32 s30, s22, s9
	s_mul_hi_u32 s0, s22, s0
	s_mul_hi_u32 s29, s22, s9
	s_add_u32 s0, s0, s30
	s_addc_u32 s22, 0, s29
	s_add_u32 s0, s0, s28
	s_mul_hi_u32 s1, s7, s9
	s_addc_u32 s0, s22, s23
	s_addc_u32 s1, s1, 0
	s_mul_i32 s9, s7, s9
	s_add_u32 s0, s0, s9
	s_addc_u32 s1, 0, s1
	v_add_co_u32_e32 v1, vcc, s0, v1
	s_cmp_lg_u64 vcc, 0
	s_addc_u32 s7, s7, s1
	s_ashr_i32 s22, s19, 31
	s_add_u32 s0, s18, s22
	s_mov_b32 s23, s22
	s_addc_u32 s1, s19, s22
	s_xor_b64 s[28:29], s[0:1], s[22:23]
	v_readfirstlane_b32 s9, v1
	s_mul_i32 s1, s28, s7
	s_mul_hi_u32 s19, s28, s9
	s_mul_hi_u32 s0, s28, s7
	s_add_u32 s1, s19, s1
	s_addc_u32 s0, 0, s0
	s_mul_hi_u32 s30, s29, s9
	s_mul_i32 s9, s29, s9
	s_add_u32 s1, s1, s9
	s_mul_hi_u32 s19, s29, s7
	s_addc_u32 s0, s0, s30
	s_addc_u32 s1, s19, 0
	s_mul_i32 s7, s29, s7
	s_add_u32 s7, s0, s7
	s_addc_u32 s9, 0, s1
	s_mul_i32 s0, s20, s9
	s_mul_hi_u32 s1, s20, s7
	s_add_i32 s0, s1, s0
	s_mul_i32 s1, s21, s7
	s_add_i32 s19, s0, s1
	s_mul_i32 s1, s20, s7
	v_mov_b32_e32 v1, s1
	s_sub_i32 s0, s29, s19
	v_sub_co_u32_e32 v1, vcc, s28, v1
	s_cmp_lg_u64 vcc, 0
	s_subb_u32 s28, s0, s21
	v_subrev_co_u32_e64 v6, s[0:1], s20, v1
	s_cmp_lg_u64 s[0:1], 0
	s_subb_u32 s0, s28, 0
	s_cmp_ge_u32 s0, s21
	v_readfirstlane_b32 s28, v6
	s_cselect_b32 s1, -1, 0
	s_cmp_ge_u32 s28, s20
	s_cselect_b32 s28, -1, 0
	s_cmp_eq_u32 s0, s21
	s_cselect_b32 s0, s28, s1
	s_add_u32 s1, s7, 1
	s_addc_u32 s28, s9, 0
	s_add_u32 s30, s7, 2
	s_addc_u32 s31, s9, 0
	s_cmp_lg_u32 s0, 0
	s_cselect_b32 s0, s30, s1
	s_cselect_b32 s1, s31, s28
	s_cmp_lg_u64 vcc, 0
	s_subb_u32 s19, s29, s19
	s_cmp_ge_u32 s19, s21
	v_readfirstlane_b32 s29, v1
	s_cselect_b32 s28, -1, 0
	s_cmp_ge_u32 s29, s20
	s_cselect_b32 s20, -1, 0
	s_cmp_eq_u32 s19, s21
	s_cselect_b32 s19, s20, s28
	s_cmp_lg_u32 s19, 0
	s_cselect_b32 s1, s1, s9
	s_cselect_b32 s0, s0, s7
	s_xor_b64 s[10:11], s[22:23], s[10:11]
	s_xor_b64 s[0:1], s[0:1], s[10:11]
	s_sub_u32 s28, s0, s10
	s_subb_u32 s29, s1, s11
	s_cbranch_execnz .LBB7_13
.LBB7_12:
	v_cvt_f32_u32_e32 v1, s26
	s_sub_i32 s0, 0, s26
	s_mov_b32 s29, 0
	v_rcp_iflag_f32_e32 v1, v1
	v_mul_f32_e32 v1, 0x4f7ffffe, v1
	v_cvt_u32_f32_e32 v1, v1
	v_readfirstlane_b32 s1, v1
	s_mul_i32 s0, s0, s1
	s_mul_hi_u32 s0, s1, s0
	s_add_i32 s1, s1, s0
	s_mul_hi_u32 s0, s18, s1
	s_mul_i32 s7, s0, s26
	s_sub_i32 s7, s18, s7
	s_add_i32 s1, s0, 1
	s_sub_i32 s9, s7, s26
	s_cmp_ge_u32 s7, s26
	s_cselect_b32 s0, s1, s0
	s_cselect_b32 s7, s9, s7
	s_add_i32 s1, s0, 1
	s_cmp_ge_u32 s7, s26
	s_cselect_b32 s28, s1, s0
.LBB7_13:
	s_waitcnt lgkmcnt(0)
	v_cmp_lt_i64_e64 s[0:1], s[26:27], 1
	s_and_b64 vcc, exec, s[0:1]
	s_cbranch_vccnz .LBB7_60
; %bb.14:
	v_bfe_u32 v6, v0, 10, 10
	s_lshl_b32 s0, s8, 5
	v_add_co_u32_e32 v8, vcc, s0, v6
	v_addc_co_u32_e64 v9, s[0:1], 0, 0, vcc
	s_load_dwordx4 s[36:39], s[4:5], 0x0
	s_load_dwordx4 s[8:11], s[4:5], 0x68
	s_load_dword s31, s[4:5], 0x58
	s_mul_i32 s0, s6, s27
	s_mul_hi_u32 s1, s6, s26
	s_load_dwordx8 s[16:23], s[4:5], 0x38
	s_add_i32 s5, s1, s0
	s_mul_i32 s0, s26, s27
	s_mul_hi_u32 s1, s26, s26
	s_add_i32 s1, s1, s0
	s_add_i32 s7, s1, s0
	s_waitcnt lgkmcnt(0)
	s_cmpk_eq_i32 s37, 0x6f
	s_cselect_b64 s[46:47], -1, 0
	s_cmp_lg_u32 s31, 1
	s_cselect_b64 s[48:49], -1, 0
	s_cmp_lg_u32 s38, 0
	v_cmp_gt_i64_e64 s[0:1], s[14:15], v[8:9]
	s_cselect_b64 s[14:15], -1, 0
	s_cmpk_eq_i32 s37, 0x71
	s_cselect_b64 s[40:41], -1, 0
	s_cmpk_lg_i32 s37, 0x71
	s_cselect_b64 s[38:39], -1, 0
	s_cmpk_lg_i32 s36, 0x71
	v_lshlrev_b64 v[10:11], 3, v[8:9]
	s_cselect_b64 s[42:43], -1, 0
	v_and_b32_e32 v0, 0x3ff, v0
	v_mov_b32_e32 v18, s21
	v_add_co_u32_e32 v1, vcc, s20, v10
	v_lshlrev_b32_e32 v10, 5, v6
	s_or_b64 s[36:37], s[42:43], s[38:39]
	s_and_b64 s[38:39], s[42:43], s[40:41]
	v_addc_co_u32_e32 v7, vcc, v18, v11, vcc
	v_add_lshl_u32 v36, v10, v0, 3
	s_xor_b64 s[38:39], s[38:39], -1
	s_or_b64 s[40:41], s[42:43], s[40:41]
	v_mul_lo_u32 v12, v9, s10
	v_mul_lo_u32 v13, v8, s11
	v_mad_u64_u32 v[10:11], s[42:43], v8, s10, 0
	s_cmp_lg_u32 s24, 1
	v_add3_u32 v11, v11, v13, v12
	v_and_b32_e32 v12, 0x7fffffff, v4
	s_mov_b32 s68, s25
	s_cselect_b64 s[24:25], -1, 0
	s_and_b64 s[42:43], s[2:3], s[0:1]
	v_cmp_ne_u32_e32 vcc, 0, v12
	v_cmp_neq_f32_e64 s[2:3], 0, v5
	s_or_b64 s[44:45], vcc, s[2:3]
	s_xor_b64 s[2:3], s[46:47], s[48:49]
	v_mov_b32_e32 v16, 0x2000
	s_xor_b64 s[46:47], s[2:3], -1
	v_lshl_add_u32 v39, v6, 8, v16
	v_mul_lo_u32 v20, s23, v8
	v_mul_lo_u32 v21, s22, v9
	v_mad_u64_u32 v[16:17], s[2:3], s22, v8, 0
	v_add3_u32 v17, v17, v21, v20
	v_lshlrev_b32_e32 v38, 3, v0
	v_lshlrev_b64 v[16:17], 3, v[16:17]
	v_add_co_u32_e32 v16, vcc, v16, v38
	v_addc_co_u32_e32 v17, vcc, 0, v17, vcc
	s_mul_i32 s4, s6, s26
	v_add_co_u32_e32 v16, vcc, s20, v16
	v_addc_co_u32_e32 v17, vcc, v18, v17, vcc
	s_lshl_b64 s[2:3], s[4:5], 3
	v_mov_b32_e32 v18, s3
	v_add_co_u32_e32 v20, vcc, s2, v38
	v_mov_b32_e32 v19, 0
	v_addc_co_u32_e32 v21, vcc, 0, v18, vcc
	v_lshlrev_b32_e32 v18, 3, v6
	s_mul_i32 s33, s26, s26
	v_mad_u64_u32 v[18:19], s[2:3], s26, v20, v[18:19]
	s_mul_i32 s2, s33, s13
	s_mul_hi_u32 s3, s33, s12
	v_mul_lo_u32 v21, s26, v21
	v_mul_lo_u32 v22, s27, v20
	s_add_i32 s2, s3, s2
	s_mul_i32 s3, s7, s12
	v_add3_u32 v19, v22, v19, v21
	v_mov_b32_e32 v20, s19
	v_add_co_u32_e32 v18, vcc, s18, v18
	s_add_i32 s3, s2, s3
	s_mul_i32 s2, s33, s12
	s_mov_b32 s30, 0
	s_mov_b64 s[34:35], 0
	v_add_u32_e32 v37, 0x2000, v36
	v_xor_b32_e32 v12, 0x80000000, v3
	v_xor_b32_e32 v14, 0x80000000, v5
	v_mov_b32_e32 v13, v2
	v_mov_b32_e32 v15, v4
	s_lshl_b64 s[20:21], s[26:27], 3
	v_addc_co_u32_e32 v19, vcc, v20, v19, vcc
	s_lshl_b64 s[48:49], s[26:27], 8
	s_lshl_b64 s[50:51], s[2:3], 3
	v_cmp_gt_i64_e64 s[52:53], s[28:29], 0
	s_branch .LBB7_16
.LBB7_15:                               ;   in Loop: Header=BB7_16 Depth=1
	s_or_b64 exec, exec, s[2:3]
	s_add_u32 s34, s34, 32
	v_mov_b32_e32 v20, s49
	v_add_co_u32_e32 v18, vcc, s48, v18
	s_addc_u32 s35, s35, 0
	v_addc_co_u32_e32 v19, vcc, v19, v20, vcc
	v_pk_mov_b32 v[20:21], s[26:27], s[26:27] op_sel:[0,1]
	v_cmp_lt_i64_e32 vcc, s[34:35], v[20:21]
	s_cbranch_vccz .LBB7_60
.LBB7_16:                               ; =>This Loop Header: Depth=1
                                        ;     Child Loop BB7_19 Depth 2
                                        ;       Child Loop BB7_22 Depth 3
	v_mov_b32_e32 v21, s35
	v_add_co_u32_e32 v20, vcc, s34, v0
	v_addc_co_u32_e32 v21, vcc, 0, v21, vcc
	s_mov_b32 s31, s30
	s_andn2_b64 vcc, exec, s[52:53]
	v_pk_mov_b32 v[28:29], s[30:31], s[30:31] op_sel:[0,1]
	v_cmp_gt_i64_e64 s[2:3], s[26:27], v[20:21]
	s_cbranch_vccnz .LBB7_51
; %bb.17:                               ;   in Loop: Header=BB7_16 Depth=1
	v_lshlrev_b64 v[22:23], 3, v[20:21]
	v_mov_b32_e32 v24, s19
	v_add_co_u32_e32 v40, vcc, s18, v22
	v_addc_co_u32_e32 v41, vcc, v24, v23, vcc
	s_mov_b64 s[54:55], 0
	v_pk_mov_b32 v[28:29], s[30:31], s[30:31] op_sel:[0,1]
	v_pk_mov_b32 v[22:23], v[18:19], v[18:19] op_sel:[0,1]
	s_branch .LBB7_19
.LBB7_18:                               ;   in Loop: Header=BB7_19 Depth=2
	s_add_u32 s54, s54, 1
	s_addc_u32 s55, s55, 0
	v_mov_b32_e32 v24, s51
	v_add_co_u32_e32 v22, vcc, s50, v22
	s_cmp_eq_u64 s[54:55], s[28:29]
	v_addc_co_u32_e32 v23, vcc, v23, v24, vcc
	s_cbranch_scc1 .LBB7_51
.LBB7_19:                               ;   Parent Loop BB7_16 Depth=1
                                        ; =>  This Loop Header: Depth=2
                                        ;       Child Loop BB7_22 Depth 3
	s_mul_i32 s31, s54, s13
	s_mul_hi_u32 s56, s54, s12
	s_add_i32 s31, s56, s31
	s_mul_i32 s56, s55, s12
	s_add_i32 s31, s31, s56
	s_mul_i32 s56, s54, s12
	s_add_u32 s56, s56, s6
	s_addc_u32 s57, s31, 0
	s_mul_i32 s31, s33, s57
	s_mul_hi_u32 s58, s33, s56
	s_add_i32 s31, s58, s31
	s_mul_i32 s58, s7, s56
	s_add_i32 s59, s31, s58
	s_lshl_b64 s[60:61], s[56:57], 3
	s_add_u32 s60, s16, s60
	s_addc_u32 s61, s17, s61
	s_load_dwordx2 s[60:61], s[60:61], 0x0
	s_mul_i32 s58, s33, s56
	v_pk_mov_b32 v[26:27], v[22:23], v[22:23] op_sel:[0,1]
	s_waitcnt lgkmcnt(0)
	s_sub_u32 s60, s60, s68
	s_subb_u32 s61, s61, 0
	s_lshl_b64 s[58:59], s[58:59], 3
	v_mov_b32_e32 v24, s59
	v_add_co_u32_e32 v42, vcc, s58, v40
	s_mul_i32 s31, s60, s27
	s_mul_hi_u32 s62, s60, s26
	v_addc_co_u32_e32 v43, vcc, v41, v24, vcc
	s_mul_i32 s58, s21, s60
	s_mul_i32 s59, s20, s61
	v_mov_b32_e32 v24, s60
	v_cmp_gt_i64_e64 s[56:57], s[60:61], -1
	s_add_i32 s31, s62, s31
	s_mul_i32 s62, s61, s26
	s_add_i32 s61, s59, s58
	v_mad_u64_u32 v[24:25], s[58:59], s20, v24, v[16:17]
	s_add_i32 s31, s31, s62
	s_mul_i32 s69, s60, s26
	v_add_u32_e32 v25, s61, v25
	s_mov_b64 s[58:59], 0
	s_branch .LBB7_22
.LBB7_20:                               ;   in Loop: Header=BB7_22 Depth=3
	v_pk_mov_b32 v[28:29], v[30:31], v[30:31] op_sel:[0,1]
.LBB7_21:                               ;   in Loop: Header=BB7_22 Depth=3
	v_add_co_u32_e32 v24, vcc, 0x100, v24
	v_addc_co_u32_e32 v25, vcc, 0, v25, vcc
	s_add_u32 s58, s58, 32
	v_add_co_u32_e32 v26, vcc, 0x100, v26
	s_addc_u32 s59, s59, 0
	v_addc_co_u32_e32 v27, vcc, 0, v27, vcc
	v_pk_mov_b32 v[30:31], s[26:27], s[26:27] op_sel:[0,1]
	v_cmp_ge_i64_e32 vcc, s[58:59], v[30:31]
	s_barrier
	s_cbranch_vccnz .LBB7_18
.LBB7_22:                               ;   Parent Loop BB7_16 Depth=1
                                        ;     Parent Loop BB7_19 Depth=2
                                        ; =>    This Inner Loop Header: Depth=3
	v_mov_b32_e32 v30, s59
	v_add_co_u32_e32 v32, vcc, s58, v0
	v_addc_co_u32_e32 v33, vcc, 0, v30, vcc
	v_cmp_gt_i64_e32 vcc, s[26:27], v[32:33]
	s_and_b64 s[60:61], s[0:1], vcc
	s_and_b64 s[62:63], s[60:61], s[56:57]
	s_and_b64 vcc, exec, s[46:47]
	s_cbranch_vccz .LBB7_26
; %bb.23:                               ;   in Loop: Header=BB7_22 Depth=3
	s_mov_b64 s[64:65], 0
	s_mov_b64 s[60:61], 0
                                        ; implicit-def: $vgpr30_vgpr31
	s_and_saveexec_b64 s[66:67], s[62:63]
	s_xor_b64 s[66:67], exec, s[66:67]
; %bb.24:                               ;   in Loop: Header=BB7_22 Depth=3
	v_mov_b32_e32 v30, s31
	v_add_co_u32_e32 v31, vcc, s69, v32
	v_addc_co_u32_e32 v30, vcc, v33, v30, vcc
	v_mul_lo_u32 v32, v30, s22
	v_mul_lo_u32 v33, v31, s23
	v_mad_u64_u32 v[30:31], s[70:71], v31, s22, 0
	v_add3_u32 v31, v31, v33, v32
	v_lshlrev_b64 v[30:31], 3, v[30:31]
	v_add_co_u32_e32 v30, vcc, v1, v30
	s_mov_b64 s[60:61], exec
	v_addc_co_u32_e32 v31, vcc, v7, v31, vcc
; %bb.25:                               ;   in Loop: Header=BB7_22 Depth=3
	s_or_b64 exec, exec, s[66:67]
	s_mov_b32 s66, 0
	s_and_b64 vcc, exec, s[64:65]
	s_cbranch_vccnz .LBB7_27
	s_branch .LBB7_28
.LBB7_26:                               ;   in Loop: Header=BB7_22 Depth=3
	s_mov_b64 s[60:61], 0
                                        ; implicit-def: $vgpr30_vgpr31
                                        ; implicit-def: $sgpr66
	s_cbranch_execz .LBB7_28
.LBB7_27:                               ;   in Loop: Header=BB7_22 Depth=3
	s_andn2_b64 s[60:61], s[60:61], exec
	s_and_b64 s[62:63], s[62:63], exec
	s_mov_b32 s66, 0
	s_or_b64 s[60:61], s[60:61], s[62:63]
	v_pk_mov_b32 v[30:31], v[24:25], v[24:25] op_sel:[0,1]
.LBB7_28:                               ;   in Loop: Header=BB7_22 Depth=3
	v_mov_b32_e32 v32, s66
	v_mov_b32_e32 v33, s66
	s_and_saveexec_b64 s[62:63], s[60:61]
	s_cbranch_execz .LBB7_30
; %bb.29:                               ;   in Loop: Header=BB7_22 Depth=3
	global_load_dwordx2 v[32:33], v[30:31], off
.LBB7_30:                               ;   in Loop: Header=BB7_22 Depth=3
	s_or_b64 exec, exec, s[62:63]
	v_mov_b32_e32 v30, s59
	v_add_co_u32_e32 v34, vcc, s58, v6
	v_addc_co_u32_e32 v35, vcc, 0, v30, vcc
	v_cmp_gt_i64_e32 vcc, s[26:27], v[34:35]
	s_and_b64 s[60:61], s[2:3], vcc
	s_and_b64 s[62:63], s[60:61], s[56:57]
	s_and_b64 vcc, exec, s[14:15]
	s_waitcnt vmcnt(0)
	ds_write_b64 v37, v[32:33]
	s_cbranch_vccz .LBB7_42
; %bb.31:                               ;   in Loop: Header=BB7_22 Depth=3
	s_mov_b64 s[64:65], 0
	s_mov_b64 s[60:61], 0
                                        ; implicit-def: $vgpr30_vgpr31
	s_and_saveexec_b64 s[66:67], s[62:63]
	s_xor_b64 s[66:67], exec, s[66:67]
; %bb.32:                               ;   in Loop: Header=BB7_22 Depth=3
	v_mul_lo_u32 v32, v35, s26
	v_mul_lo_u32 v33, v34, s27
	v_mad_u64_u32 v[30:31], s[70:71], v34, s26, 0
	v_add3_u32 v31, v31, v33, v32
	v_lshlrev_b64 v[30:31], 3, v[30:31]
	v_add_co_u32_e32 v30, vcc, v42, v30
	s_mov_b64 s[60:61], exec
	v_addc_co_u32_e32 v31, vcc, v43, v31, vcc
; %bb.33:                               ;   in Loop: Header=BB7_22 Depth=3
	s_or_b64 exec, exec, s[66:67]
	s_mov_b32 s66, 0
	s_and_b64 vcc, exec, s[64:65]
	s_cbranch_vccz .LBB7_35
.LBB7_34:                               ;   in Loop: Header=BB7_22 Depth=3
	s_andn2_b64 s[60:61], s[60:61], exec
	s_and_b64 s[62:63], s[62:63], exec
	s_mov_b32 s66, 0
	s_or_b64 s[60:61], s[60:61], s[62:63]
	v_pk_mov_b32 v[30:31], v[26:27], v[26:27] op_sel:[0,1]
.LBB7_35:                               ;   in Loop: Header=BB7_22 Depth=3
	v_mov_b32_e32 v32, s66
	v_mov_b32_e32 v33, s66
	s_and_saveexec_b64 s[62:63], s[60:61]
	s_cbranch_execz .LBB7_37
; %bb.36:                               ;   in Loop: Header=BB7_22 Depth=3
	global_load_dwordx2 v[32:33], v[30:31], off
.LBB7_37:                               ;   in Loop: Header=BB7_22 Depth=3
	s_or_b64 exec, exec, s[62:63]
	s_andn2_b64 vcc, exec, s[56:57]
	s_waitcnt vmcnt(0)
	ds_write_b64 v36, v[32:33]
	s_waitcnt lgkmcnt(0)
	s_barrier
	s_cbranch_vccnz .LBB7_21
; %bb.38:                               ;   in Loop: Header=BB7_22 Depth=3
	s_and_b64 vcc, exec, s[36:37]
	s_cbranch_vccz .LBB7_43
; %bb.39:                               ;   in Loop: Header=BB7_22 Depth=3
	s_and_b64 vcc, exec, s[38:39]
	s_cbranch_vccz .LBB7_44
	;; [unrolled: 3-line block ×3, first 2 shown]
; %bb.41:                               ;   in Loop: Header=BB7_22 Depth=3
	ds_read2_b64 v[30:33], v38 offset1:32
	ds_read_b128 v[44:47], v39
	ds_read_b128 v[48:51], v39 offset:16
	ds_read_b128 v[52:55], v39 offset:32
	;; [unrolled: 1-line block ×3, first 2 shown]
	ds_read2_b64 v[60:63], v38 offset0:64 offset1:96
	s_waitcnt lgkmcnt(4)
	v_pk_fma_f32 v[34:35], v[30:31], v[44:45], v[28:29] op_sel_hi:[1,0,1]
	v_pk_fma_f32 v[30:31], v[30:31], v[44:45], v[34:35] op_sel:[1,1,0] op_sel_hi:[0,1,1] neg_lo:[1,0,0]
	v_pk_fma_f32 v[30:31], v[32:33], v[46:47], v[30:31] op_sel_hi:[1,0,1]
	v_mov_b32_e32 v34, v47
	v_pk_fma_f32 v[30:31], v[32:33], v[34:35], v[30:31] op_sel:[1,0,0] op_sel_hi:[0,0,1] neg_lo:[1,0,0]
	s_waitcnt lgkmcnt(0)
	v_pk_fma_f32 v[34:35], v[60:61], v[48:49], v[30:31] op_sel_hi:[1,0,1]
	ds_read2_b64 v[30:33], v38 offset0:128 offset1:160
	v_pk_fma_f32 v[34:35], v[60:61], v[48:49], v[34:35] op_sel:[1,1,0] op_sel_hi:[0,1,1] neg_lo:[1,0,0]
	v_pk_fma_f32 v[34:35], v[62:63], v[50:51], v[34:35] op_sel_hi:[1,0,1]
	v_mov_b32_e32 v44, v51
	v_pk_fma_f32 v[34:35], v[62:63], v[44:45], v[34:35] op_sel:[1,0,0] op_sel_hi:[0,0,1] neg_lo:[1,0,0]
	ds_read2_b64 v[44:47], v38 offset0:192 offset1:224
	s_waitcnt lgkmcnt(1)
	v_pk_fma_f32 v[34:35], v[30:31], v[52:53], v[34:35] op_sel_hi:[1,0,1]
	v_pk_fma_f32 v[30:31], v[30:31], v[52:53], v[34:35] op_sel:[1,1,0] op_sel_hi:[0,1,1] neg_lo:[1,0,0]
	v_pk_fma_f32 v[30:31], v[32:33], v[54:55], v[30:31] op_sel_hi:[1,0,1]
	v_mov_b32_e32 v34, v55
	v_pk_fma_f32 v[30:31], v[32:33], v[34:35], v[30:31] op_sel:[1,0,0] op_sel_hi:[0,0,1] neg_lo:[1,0,0]
	s_waitcnt lgkmcnt(0)
	v_pk_fma_f32 v[30:31], v[44:45], v[56:57], v[30:31] op_sel_hi:[1,0,1]
	v_pk_fma_f32 v[34:35], v[44:45], v[56:57], v[30:31] op_sel:[1,1,0] op_sel_hi:[0,1,1] neg_lo:[1,0,0]
	v_add_u32_e32 v56, 0x800, v38
	ds_read2_b64 v[30:33], v56 offset1:32
	ds_read_b128 v[48:51], v39 offset:64
	v_pk_fma_f32 v[34:35], v[46:47], v[58:59], v[34:35] op_sel_hi:[1,0,1]
	v_mov_b32_e32 v44, v59
	v_pk_fma_f32 v[34:35], v[46:47], v[44:45], v[34:35] op_sel:[1,0,0] op_sel_hi:[0,0,1] neg_lo:[1,0,0]
	ds_read_b128 v[44:47], v39 offset:80
	ds_read2_b64 v[52:55], v56 offset0:64 offset1:96
	s_waitcnt lgkmcnt(2)
	v_pk_fma_f32 v[34:35], v[30:31], v[48:49], v[34:35] op_sel_hi:[1,0,1]
	v_pk_fma_f32 v[30:31], v[30:31], v[48:49], v[34:35] op_sel:[1,1,0] op_sel_hi:[0,1,1] neg_lo:[1,0,0]
	v_pk_fma_f32 v[30:31], v[32:33], v[50:51], v[30:31] op_sel_hi:[1,0,1]
	v_mov_b32_e32 v34, v51
	v_pk_fma_f32 v[30:31], v[32:33], v[34:35], v[30:31] op_sel:[1,0,0] op_sel_hi:[0,0,1] neg_lo:[1,0,0]
	s_waitcnt lgkmcnt(0)
	v_pk_fma_f32 v[30:31], v[52:53], v[44:45], v[30:31] op_sel_hi:[1,0,1]
	v_pk_fma_f32 v[34:35], v[52:53], v[44:45], v[30:31] op_sel:[1,1,0] op_sel_hi:[0,1,1] neg_lo:[1,0,0]
	ds_read2_b64 v[30:33], v56 offset0:128 offset1:160
	ds_read_b128 v[48:51], v39 offset:96
	v_pk_fma_f32 v[34:35], v[54:55], v[46:47], v[34:35] op_sel_hi:[1,0,1]
	v_mov_b32_e32 v44, v47
	v_pk_fma_f32 v[34:35], v[54:55], v[44:45], v[34:35] op_sel:[1,0,0] op_sel_hi:[0,0,1] neg_lo:[1,0,0]
	ds_read_b128 v[44:47], v39 offset:112
	ds_read2_b64 v[52:55], v56 offset0:192 offset1:224
	s_waitcnt lgkmcnt(2)
	v_pk_fma_f32 v[34:35], v[30:31], v[48:49], v[34:35] op_sel_hi:[1,0,1]
	v_pk_fma_f32 v[30:31], v[30:31], v[48:49], v[34:35] op_sel:[1,1,0] op_sel_hi:[0,1,1] neg_lo:[1,0,0]
	v_pk_fma_f32 v[30:31], v[32:33], v[50:51], v[30:31] op_sel_hi:[1,0,1]
	v_mov_b32_e32 v34, v51
	v_pk_fma_f32 v[30:31], v[32:33], v[34:35], v[30:31] op_sel:[1,0,0] op_sel_hi:[0,0,1] neg_lo:[1,0,0]
	s_waitcnt lgkmcnt(0)
	v_pk_fma_f32 v[30:31], v[52:53], v[44:45], v[30:31] op_sel_hi:[1,0,1]
	v_add_u32_e32 v56, 0x1000, v38
	v_pk_fma_f32 v[34:35], v[52:53], v[44:45], v[30:31] op_sel:[1,1,0] op_sel_hi:[0,1,1] neg_lo:[1,0,0]
	ds_read2_b64 v[30:33], v56 offset1:32
	ds_read_b128 v[48:51], v39 offset:128
	v_pk_fma_f32 v[34:35], v[54:55], v[46:47], v[34:35] op_sel_hi:[1,0,1]
	v_mov_b32_e32 v44, v47
	v_pk_fma_f32 v[34:35], v[54:55], v[44:45], v[34:35] op_sel:[1,0,0] op_sel_hi:[0,0,1] neg_lo:[1,0,0]
	ds_read_b128 v[44:47], v39 offset:144
	ds_read2_b64 v[52:55], v56 offset0:64 offset1:96
	s_waitcnt lgkmcnt(2)
	v_pk_fma_f32 v[34:35], v[30:31], v[48:49], v[34:35] op_sel_hi:[1,0,1]
	v_pk_fma_f32 v[30:31], v[30:31], v[48:49], v[34:35] op_sel:[1,1,0] op_sel_hi:[0,1,1] neg_lo:[1,0,0]
	v_pk_fma_f32 v[30:31], v[32:33], v[50:51], v[30:31] op_sel_hi:[1,0,1]
	v_mov_b32_e32 v34, v51
	v_pk_fma_f32 v[30:31], v[32:33], v[34:35], v[30:31] op_sel:[1,0,0] op_sel_hi:[0,0,1] neg_lo:[1,0,0]
	s_waitcnt lgkmcnt(0)
	v_pk_fma_f32 v[30:31], v[52:53], v[44:45], v[30:31] op_sel_hi:[1,0,1]
	v_pk_fma_f32 v[34:35], v[52:53], v[44:45], v[30:31] op_sel:[1,1,0] op_sel_hi:[0,1,1] neg_lo:[1,0,0]
	ds_read2_b64 v[30:33], v56 offset0:128 offset1:160
	ds_read_b128 v[48:51], v39 offset:160
	v_pk_fma_f32 v[34:35], v[54:55], v[46:47], v[34:35] op_sel_hi:[1,0,1]
	v_mov_b32_e32 v44, v47
	v_pk_fma_f32 v[34:35], v[54:55], v[44:45], v[34:35] op_sel:[1,0,0] op_sel_hi:[0,0,1] neg_lo:[1,0,0]
	ds_read_b128 v[44:47], v39 offset:176
	ds_read2_b64 v[52:55], v56 offset0:192 offset1:224
	s_waitcnt lgkmcnt(2)
	v_pk_fma_f32 v[34:35], v[30:31], v[48:49], v[34:35] op_sel_hi:[1,0,1]
	v_pk_fma_f32 v[30:31], v[30:31], v[48:49], v[34:35] op_sel:[1,1,0] op_sel_hi:[0,1,1] neg_lo:[1,0,0]
	v_pk_fma_f32 v[30:31], v[32:33], v[50:51], v[30:31] op_sel_hi:[1,0,1]
	v_mov_b32_e32 v34, v51
	v_pk_fma_f32 v[30:31], v[32:33], v[34:35], v[30:31] op_sel:[1,0,0] op_sel_hi:[0,0,1] neg_lo:[1,0,0]
	s_waitcnt lgkmcnt(0)
	v_pk_fma_f32 v[30:31], v[52:53], v[44:45], v[30:31] op_sel_hi:[1,0,1]
	v_add_u32_e32 v56, 0x1800, v38
	v_pk_fma_f32 v[34:35], v[52:53], v[44:45], v[30:31] op_sel:[1,1,0] op_sel_hi:[0,1,1] neg_lo:[1,0,0]
	ds_read2_b64 v[30:33], v56 offset1:32
	ds_read_b128 v[48:51], v39 offset:192
	v_pk_fma_f32 v[34:35], v[54:55], v[46:47], v[34:35] op_sel_hi:[1,0,1]
	v_mov_b32_e32 v44, v47
	v_pk_fma_f32 v[34:35], v[54:55], v[44:45], v[34:35] op_sel:[1,0,0] op_sel_hi:[0,0,1] neg_lo:[1,0,0]
	ds_read_b128 v[44:47], v39 offset:208
	ds_read2_b64 v[52:55], v56 offset0:64 offset1:96
	s_waitcnt lgkmcnt(2)
	v_pk_fma_f32 v[34:35], v[30:31], v[48:49], v[34:35] op_sel_hi:[1,0,1]
	v_pk_fma_f32 v[30:31], v[30:31], v[48:49], v[34:35] op_sel:[1,1,0] op_sel_hi:[0,1,1] neg_lo:[1,0,0]
	v_pk_fma_f32 v[30:31], v[32:33], v[50:51], v[30:31] op_sel_hi:[1,0,1]
	v_mov_b32_e32 v34, v51
	v_pk_fma_f32 v[30:31], v[32:33], v[34:35], v[30:31] op_sel:[1,0,0] op_sel_hi:[0,0,1] neg_lo:[1,0,0]
	s_waitcnt lgkmcnt(0)
	v_pk_fma_f32 v[30:31], v[52:53], v[44:45], v[30:31] op_sel_hi:[1,0,1]
	v_pk_fma_f32 v[34:35], v[52:53], v[44:45], v[30:31] op_sel:[1,1,0] op_sel_hi:[0,1,1] neg_lo:[1,0,0]
	ds_read2_b64 v[30:33], v56 offset0:128 offset1:160
	ds_read_b128 v[48:51], v39 offset:224
	v_pk_fma_f32 v[34:35], v[54:55], v[46:47], v[34:35] op_sel_hi:[1,0,1]
	v_mov_b32_e32 v44, v47
	v_pk_fma_f32 v[34:35], v[54:55], v[44:45], v[34:35] op_sel:[1,0,0] op_sel_hi:[0,0,1] neg_lo:[1,0,0]
	ds_read_b128 v[44:47], v39 offset:240
	ds_read2_b64 v[52:55], v56 offset0:192 offset1:224
	s_waitcnt lgkmcnt(2)
	v_pk_fma_f32 v[34:35], v[30:31], v[48:49], v[34:35] op_sel_hi:[1,0,1]
	v_pk_fma_f32 v[30:31], v[30:31], v[48:49], v[34:35] op_sel:[1,1,0] op_sel_hi:[0,1,1] neg_lo:[1,0,0]
	v_pk_fma_f32 v[30:31], v[32:33], v[50:51], v[30:31] op_sel_hi:[1,0,1]
	v_mov_b32_e32 v34, v51
	v_pk_fma_f32 v[30:31], v[32:33], v[34:35], v[30:31] op_sel:[1,0,0] op_sel_hi:[0,0,1] neg_lo:[1,0,0]
	s_waitcnt lgkmcnt(0)
	v_pk_fma_f32 v[30:31], v[52:53], v[44:45], v[30:31] op_sel_hi:[1,0,1]
	v_pk_fma_f32 v[30:31], v[52:53], v[44:45], v[30:31] op_sel:[1,1,0] op_sel_hi:[0,1,1] neg_lo:[1,0,0]
	v_pk_fma_f32 v[30:31], v[54:55], v[46:47], v[30:31] op_sel_hi:[1,0,1]
	v_mov_b32_e32 v32, v47
	v_pk_fma_f32 v[30:31], v[54:55], v[32:33], v[30:31] op_sel:[1,0,0] op_sel_hi:[0,0,1] neg_lo:[1,0,0]
	s_cbranch_execz .LBB7_46
	s_branch .LBB7_47
.LBB7_42:                               ;   in Loop: Header=BB7_22 Depth=3
	s_mov_b64 s[60:61], 0
                                        ; implicit-def: $vgpr30_vgpr31
                                        ; implicit-def: $sgpr66
	s_cbranch_execnz .LBB7_34
	s_branch .LBB7_35
.LBB7_43:                               ;   in Loop: Header=BB7_22 Depth=3
                                        ; implicit-def: $vgpr30_vgpr31
	s_branch .LBB7_50
.LBB7_44:                               ;   in Loop: Header=BB7_22 Depth=3
                                        ; implicit-def: $vgpr30_vgpr31
	s_branch .LBB7_48
.LBB7_45:                               ;   in Loop: Header=BB7_22 Depth=3
                                        ; implicit-def: $vgpr30_vgpr31
.LBB7_46:                               ;   in Loop: Header=BB7_22 Depth=3
	ds_read2_b64 v[30:33], v38 offset1:32
	ds_read_b128 v[44:47], v39
	ds_read_b128 v[48:51], v39 offset:16
	ds_read_b128 v[52:55], v39 offset:32
	;; [unrolled: 1-line block ×3, first 2 shown]
	ds_read2_b64 v[60:63], v38 offset0:64 offset1:96
	s_waitcnt lgkmcnt(5)
	v_xor_b32_e32 v35, 0x80000000, v31
	v_mov_b32_e32 v34, v30
	s_waitcnt lgkmcnt(4)
	v_pk_fma_f32 v[34:35], v[34:35], v[44:45], v[28:29] op_sel_hi:[1,0,1]
	v_pk_fma_f32 v[30:31], v[30:31], v[44:45], v[34:35] op_sel:[1,1,0] op_sel_hi:[0,1,1]
	v_xor_b32_e32 v35, 0x80000000, v33
	v_mov_b32_e32 v34, v32
	v_pk_fma_f32 v[30:31], v[34:35], v[46:47], v[30:31] op_sel_hi:[1,0,1]
	v_mov_b32_e32 v34, v47
	v_pk_fma_f32 v[30:31], v[32:33], v[34:35], v[30:31] op_sel:[1,0,0] op_sel_hi:[0,0,1]
	s_waitcnt lgkmcnt(0)
	v_xor_b32_e32 v33, 0x80000000, v61
	v_mov_b32_e32 v32, v60
	v_pk_fma_f32 v[30:31], v[32:33], v[48:49], v[30:31] op_sel_hi:[1,0,1]
	v_pk_fma_f32 v[34:35], v[60:61], v[48:49], v[30:31] op_sel:[1,1,0] op_sel_hi:[0,1,1]
	ds_read2_b64 v[30:33], v38 offset0:128 offset1:160
	v_xor_b32_e32 v45, 0x80000000, v63
	v_mov_b32_e32 v44, v62
	v_pk_fma_f32 v[34:35], v[44:45], v[50:51], v[34:35] op_sel_hi:[1,0,1]
	v_mov_b32_e32 v44, v51
	v_pk_fma_f32 v[34:35], v[62:63], v[44:45], v[34:35] op_sel:[1,0,0] op_sel_hi:[0,0,1]
	s_waitcnt lgkmcnt(0)
	v_xor_b32_e32 v45, 0x80000000, v31
	v_mov_b32_e32 v44, v30
	v_pk_fma_f32 v[34:35], v[44:45], v[52:53], v[34:35] op_sel_hi:[1,0,1]
	ds_read2_b64 v[44:47], v38 offset0:192 offset1:224
	v_pk_fma_f32 v[30:31], v[30:31], v[52:53], v[34:35] op_sel:[1,1,0] op_sel_hi:[0,1,1]
	v_xor_b32_e32 v35, 0x80000000, v33
	v_mov_b32_e32 v34, v32
	v_pk_fma_f32 v[30:31], v[34:35], v[54:55], v[30:31] op_sel_hi:[1,0,1]
	v_mov_b32_e32 v34, v55
	v_pk_fma_f32 v[30:31], v[32:33], v[34:35], v[30:31] op_sel:[1,0,0] op_sel_hi:[0,0,1]
	s_waitcnt lgkmcnt(0)
	v_xor_b32_e32 v33, 0x80000000, v45
	v_mov_b32_e32 v32, v44
	v_pk_fma_f32 v[30:31], v[32:33], v[56:57], v[30:31] op_sel_hi:[1,0,1]
	v_pk_fma_f32 v[34:35], v[44:45], v[56:57], v[30:31] op_sel:[1,1,0] op_sel_hi:[0,1,1]
	v_add_u32_e32 v56, 0x800, v38
	ds_read2_b64 v[30:33], v56 offset1:32
	ds_read_b128 v[48:51], v39 offset:64
	v_xor_b32_e32 v45, 0x80000000, v47
	v_mov_b32_e32 v44, v46
	v_pk_fma_f32 v[34:35], v[44:45], v[58:59], v[34:35] op_sel_hi:[1,0,1]
	v_mov_b32_e32 v44, v59
	v_pk_fma_f32 v[34:35], v[46:47], v[44:45], v[34:35] op_sel:[1,0,0] op_sel_hi:[0,0,1]
	ds_read_b128 v[44:47], v39 offset:80
	s_waitcnt lgkmcnt(2)
	v_xor_b32_e32 v53, 0x80000000, v31
	v_mov_b32_e32 v52, v30
	s_waitcnt lgkmcnt(1)
	v_pk_fma_f32 v[34:35], v[52:53], v[48:49], v[34:35] op_sel_hi:[1,0,1]
	ds_read2_b64 v[52:55], v56 offset0:64 offset1:96
	v_pk_fma_f32 v[30:31], v[30:31], v[48:49], v[34:35] op_sel:[1,1,0] op_sel_hi:[0,1,1]
	v_xor_b32_e32 v35, 0x80000000, v33
	v_mov_b32_e32 v34, v32
	v_pk_fma_f32 v[30:31], v[34:35], v[50:51], v[30:31] op_sel_hi:[1,0,1]
	v_mov_b32_e32 v34, v51
	v_pk_fma_f32 v[30:31], v[32:33], v[34:35], v[30:31] op_sel:[1,0,0] op_sel_hi:[0,0,1]
	s_waitcnt lgkmcnt(0)
	v_xor_b32_e32 v33, 0x80000000, v53
	v_mov_b32_e32 v32, v52
	v_pk_fma_f32 v[30:31], v[32:33], v[44:45], v[30:31] op_sel_hi:[1,0,1]
	v_pk_fma_f32 v[34:35], v[52:53], v[44:45], v[30:31] op_sel:[1,1,0] op_sel_hi:[0,1,1]
	v_xor_b32_e32 v45, 0x80000000, v55
	v_mov_b32_e32 v44, v54
	ds_read2_b64 v[30:33], v56 offset0:128 offset1:160
	v_pk_fma_f32 v[34:35], v[44:45], v[46:47], v[34:35] op_sel_hi:[1,0,1]
	v_mov_b32_e32 v48, v47
	ds_read_b128 v[44:47], v39 offset:96
	v_pk_fma_f32 v[34:35], v[54:55], v[48:49], v[34:35] op_sel:[1,0,0] op_sel_hi:[0,0,1]
	ds_read_b128 v[48:51], v39 offset:112
	s_waitcnt lgkmcnt(2)
	v_xor_b32_e32 v53, 0x80000000, v31
	v_mov_b32_e32 v52, v30
	s_waitcnt lgkmcnt(1)
	v_pk_fma_f32 v[34:35], v[52:53], v[44:45], v[34:35] op_sel_hi:[1,0,1]
	ds_read2_b64 v[52:55], v56 offset0:192 offset1:224
	v_pk_fma_f32 v[30:31], v[30:31], v[44:45], v[34:35] op_sel:[1,1,0] op_sel_hi:[0,1,1]
	v_xor_b32_e32 v35, 0x80000000, v33
	v_mov_b32_e32 v34, v32
	v_pk_fma_f32 v[30:31], v[34:35], v[46:47], v[30:31] op_sel_hi:[1,0,1]
	v_mov_b32_e32 v34, v47
	v_pk_fma_f32 v[30:31], v[32:33], v[34:35], v[30:31] op_sel:[1,0,0] op_sel_hi:[0,0,1]
	s_waitcnt lgkmcnt(0)
	v_xor_b32_e32 v33, 0x80000000, v53
	v_mov_b32_e32 v32, v52
	v_pk_fma_f32 v[30:31], v[32:33], v[48:49], v[30:31] op_sel_hi:[1,0,1]
	v_add_u32_e32 v56, 0x1000, v38
	v_pk_fma_f32 v[34:35], v[52:53], v[48:49], v[30:31] op_sel:[1,1,0] op_sel_hi:[0,1,1]
	v_xor_b32_e32 v45, 0x80000000, v55
	v_mov_b32_e32 v44, v54
	ds_read2_b64 v[30:33], v56 offset1:32
	v_pk_fma_f32 v[34:35], v[44:45], v[50:51], v[34:35] op_sel_hi:[1,0,1]
	ds_read_b128 v[44:47], v39 offset:128
	v_mov_b32_e32 v48, v51
	v_pk_fma_f32 v[34:35], v[54:55], v[48:49], v[34:35] op_sel:[1,0,0] op_sel_hi:[0,0,1]
	ds_read_b128 v[48:51], v39 offset:144
	s_waitcnt lgkmcnt(2)
	v_xor_b32_e32 v53, 0x80000000, v31
	v_mov_b32_e32 v52, v30
	s_waitcnt lgkmcnt(1)
	v_pk_fma_f32 v[34:35], v[52:53], v[44:45], v[34:35] op_sel_hi:[1,0,1]
	ds_read2_b64 v[52:55], v56 offset0:64 offset1:96
	v_pk_fma_f32 v[30:31], v[30:31], v[44:45], v[34:35] op_sel:[1,1,0] op_sel_hi:[0,1,1]
	v_xor_b32_e32 v35, 0x80000000, v33
	v_mov_b32_e32 v34, v32
	v_pk_fma_f32 v[30:31], v[34:35], v[46:47], v[30:31] op_sel_hi:[1,0,1]
	v_mov_b32_e32 v34, v47
	v_pk_fma_f32 v[30:31], v[32:33], v[34:35], v[30:31] op_sel:[1,0,0] op_sel_hi:[0,0,1]
	s_waitcnt lgkmcnt(0)
	v_xor_b32_e32 v33, 0x80000000, v53
	v_mov_b32_e32 v32, v52
	v_pk_fma_f32 v[30:31], v[32:33], v[48:49], v[30:31] op_sel_hi:[1,0,1]
	v_pk_fma_f32 v[34:35], v[52:53], v[48:49], v[30:31] op_sel:[1,1,0] op_sel_hi:[0,1,1]
	v_xor_b32_e32 v45, 0x80000000, v55
	v_mov_b32_e32 v44, v54
	ds_read2_b64 v[30:33], v56 offset0:128 offset1:160
	v_pk_fma_f32 v[34:35], v[44:45], v[50:51], v[34:35] op_sel_hi:[1,0,1]
	ds_read_b128 v[44:47], v39 offset:160
	v_mov_b32_e32 v48, v51
	v_pk_fma_f32 v[34:35], v[54:55], v[48:49], v[34:35] op_sel:[1,0,0] op_sel_hi:[0,0,1]
	ds_read_b128 v[48:51], v39 offset:176
	s_waitcnt lgkmcnt(2)
	v_xor_b32_e32 v53, 0x80000000, v31
	v_mov_b32_e32 v52, v30
	s_waitcnt lgkmcnt(1)
	v_pk_fma_f32 v[34:35], v[52:53], v[44:45], v[34:35] op_sel_hi:[1,0,1]
	ds_read2_b64 v[52:55], v56 offset0:192 offset1:224
	v_pk_fma_f32 v[30:31], v[30:31], v[44:45], v[34:35] op_sel:[1,1,0] op_sel_hi:[0,1,1]
	v_xor_b32_e32 v35, 0x80000000, v33
	v_mov_b32_e32 v34, v32
	v_pk_fma_f32 v[30:31], v[34:35], v[46:47], v[30:31] op_sel_hi:[1,0,1]
	v_mov_b32_e32 v34, v47
	v_pk_fma_f32 v[30:31], v[32:33], v[34:35], v[30:31] op_sel:[1,0,0] op_sel_hi:[0,0,1]
	s_waitcnt lgkmcnt(0)
	v_xor_b32_e32 v33, 0x80000000, v53
	v_mov_b32_e32 v32, v52
	v_pk_fma_f32 v[30:31], v[32:33], v[48:49], v[30:31] op_sel_hi:[1,0,1]
	v_add_u32_e32 v56, 0x1800, v38
	v_pk_fma_f32 v[34:35], v[52:53], v[48:49], v[30:31] op_sel:[1,1,0] op_sel_hi:[0,1,1]
	v_xor_b32_e32 v45, 0x80000000, v55
	v_mov_b32_e32 v44, v54
	ds_read2_b64 v[30:33], v56 offset1:32
	v_pk_fma_f32 v[34:35], v[44:45], v[50:51], v[34:35] op_sel_hi:[1,0,1]
	ds_read_b128 v[44:47], v39 offset:192
	v_mov_b32_e32 v48, v51
	v_pk_fma_f32 v[34:35], v[54:55], v[48:49], v[34:35] op_sel:[1,0,0] op_sel_hi:[0,0,1]
	ds_read_b128 v[48:51], v39 offset:208
	s_waitcnt lgkmcnt(2)
	v_xor_b32_e32 v53, 0x80000000, v31
	v_mov_b32_e32 v52, v30
	s_waitcnt lgkmcnt(1)
	v_pk_fma_f32 v[34:35], v[52:53], v[44:45], v[34:35] op_sel_hi:[1,0,1]
	ds_read2_b64 v[52:55], v56 offset0:64 offset1:96
	v_pk_fma_f32 v[30:31], v[30:31], v[44:45], v[34:35] op_sel:[1,1,0] op_sel_hi:[0,1,1]
	v_xor_b32_e32 v35, 0x80000000, v33
	v_mov_b32_e32 v34, v32
	v_pk_fma_f32 v[30:31], v[34:35], v[46:47], v[30:31] op_sel_hi:[1,0,1]
	v_mov_b32_e32 v34, v47
	v_pk_fma_f32 v[30:31], v[32:33], v[34:35], v[30:31] op_sel:[1,0,0] op_sel_hi:[0,0,1]
	s_waitcnt lgkmcnt(0)
	v_xor_b32_e32 v33, 0x80000000, v53
	v_mov_b32_e32 v32, v52
	v_pk_fma_f32 v[30:31], v[32:33], v[48:49], v[30:31] op_sel_hi:[1,0,1]
	v_pk_fma_f32 v[34:35], v[52:53], v[48:49], v[30:31] op_sel:[1,1,0] op_sel_hi:[0,1,1]
	v_xor_b32_e32 v45, 0x80000000, v55
	v_mov_b32_e32 v44, v54
	ds_read2_b64 v[30:33], v56 offset0:128 offset1:160
	v_pk_fma_f32 v[34:35], v[44:45], v[50:51], v[34:35] op_sel_hi:[1,0,1]
	ds_read_b128 v[44:47], v39 offset:224
	v_mov_b32_e32 v48, v51
	v_pk_fma_f32 v[34:35], v[54:55], v[48:49], v[34:35] op_sel:[1,0,0] op_sel_hi:[0,0,1]
	ds_read_b128 v[48:51], v39 offset:240
	s_waitcnt lgkmcnt(2)
	v_xor_b32_e32 v53, 0x80000000, v31
	v_mov_b32_e32 v52, v30
	s_waitcnt lgkmcnt(1)
	v_pk_fma_f32 v[34:35], v[52:53], v[44:45], v[34:35] op_sel_hi:[1,0,1]
	ds_read2_b64 v[52:55], v56 offset0:192 offset1:224
	v_pk_fma_f32 v[30:31], v[30:31], v[44:45], v[34:35] op_sel:[1,1,0] op_sel_hi:[0,1,1]
	v_xor_b32_e32 v35, 0x80000000, v33
	v_mov_b32_e32 v34, v32
	v_pk_fma_f32 v[30:31], v[34:35], v[46:47], v[30:31] op_sel_hi:[1,0,1]
	v_mov_b32_e32 v34, v47
	v_pk_fma_f32 v[30:31], v[32:33], v[34:35], v[30:31] op_sel:[1,0,0] op_sel_hi:[0,0,1]
	s_waitcnt lgkmcnt(0)
	v_xor_b32_e32 v33, 0x80000000, v53
	v_mov_b32_e32 v32, v52
	v_pk_fma_f32 v[30:31], v[32:33], v[48:49], v[30:31] op_sel_hi:[1,0,1]
	v_pk_fma_f32 v[30:31], v[52:53], v[48:49], v[30:31] op_sel:[1,1,0] op_sel_hi:[0,1,1]
	v_xor_b32_e32 v33, 0x80000000, v55
	v_mov_b32_e32 v32, v54
	v_pk_fma_f32 v[30:31], v[32:33], v[50:51], v[30:31] op_sel_hi:[1,0,1]
	v_mov_b32_e32 v32, v51
	v_pk_fma_f32 v[30:31], v[54:55], v[32:33], v[30:31] op_sel:[1,0,0] op_sel_hi:[0,0,1]
.LBB7_47:                               ;   in Loop: Header=BB7_22 Depth=3
	s_cbranch_execnz .LBB7_49
.LBB7_48:                               ;   in Loop: Header=BB7_22 Depth=3
	ds_read2_b64 v[30:33], v38 offset1:32
	ds_read_b128 v[44:47], v39
	ds_read_b128 v[48:51], v39 offset:16
	ds_read_b128 v[52:55], v39 offset:32
	;; [unrolled: 1-line block ×3, first 2 shown]
	ds_read2_b64 v[60:63], v38 offset0:64 offset1:96
	s_waitcnt lgkmcnt(4)
	v_pk_fma_f32 v[34:35], v[30:31], v[44:45], v[28:29] op_sel_hi:[1,0,1]
	v_pk_fma_f32 v[30:31], v[30:31], v[44:45], v[34:35] op_sel:[1,1,0] op_sel_hi:[0,1,1] neg_hi:[0,1,0]
	v_pk_fma_f32 v[30:31], v[32:33], v[46:47], v[30:31] op_sel_hi:[1,0,1]
	v_mov_b32_e32 v34, v47
	v_pk_fma_f32 v[30:31], v[32:33], v[34:35], v[30:31] op_sel:[1,0,0] op_sel_hi:[0,0,1] neg_hi:[0,1,0]
	s_waitcnt lgkmcnt(0)
	v_pk_fma_f32 v[34:35], v[60:61], v[48:49], v[30:31] op_sel_hi:[1,0,1]
	ds_read2_b64 v[30:33], v38 offset0:128 offset1:160
	v_pk_fma_f32 v[34:35], v[60:61], v[48:49], v[34:35] op_sel:[1,1,0] op_sel_hi:[0,1,1] neg_hi:[0,1,0]
	v_pk_fma_f32 v[34:35], v[62:63], v[50:51], v[34:35] op_sel_hi:[1,0,1]
	v_mov_b32_e32 v44, v51
	v_pk_fma_f32 v[34:35], v[62:63], v[44:45], v[34:35] op_sel:[1,0,0] op_sel_hi:[0,0,1] neg_hi:[0,1,0]
	ds_read2_b64 v[44:47], v38 offset0:192 offset1:224
	s_waitcnt lgkmcnt(1)
	v_pk_fma_f32 v[34:35], v[30:31], v[52:53], v[34:35] op_sel_hi:[1,0,1]
	v_pk_fma_f32 v[30:31], v[30:31], v[52:53], v[34:35] op_sel:[1,1,0] op_sel_hi:[0,1,1] neg_hi:[0,1,0]
	v_pk_fma_f32 v[30:31], v[32:33], v[54:55], v[30:31] op_sel_hi:[1,0,1]
	v_mov_b32_e32 v34, v55
	v_pk_fma_f32 v[30:31], v[32:33], v[34:35], v[30:31] op_sel:[1,0,0] op_sel_hi:[0,0,1] neg_hi:[0,1,0]
	s_waitcnt lgkmcnt(0)
	v_pk_fma_f32 v[30:31], v[44:45], v[56:57], v[30:31] op_sel_hi:[1,0,1]
	v_pk_fma_f32 v[34:35], v[44:45], v[56:57], v[30:31] op_sel:[1,1,0] op_sel_hi:[0,1,1] neg_hi:[0,1,0]
	v_add_u32_e32 v56, 0x800, v38
	ds_read2_b64 v[30:33], v56 offset1:32
	ds_read_b128 v[48:51], v39 offset:64
	v_pk_fma_f32 v[34:35], v[46:47], v[58:59], v[34:35] op_sel_hi:[1,0,1]
	v_mov_b32_e32 v44, v59
	v_pk_fma_f32 v[34:35], v[46:47], v[44:45], v[34:35] op_sel:[1,0,0] op_sel_hi:[0,0,1] neg_hi:[0,1,0]
	ds_read_b128 v[44:47], v39 offset:80
	ds_read2_b64 v[52:55], v56 offset0:64 offset1:96
	s_waitcnt lgkmcnt(2)
	v_pk_fma_f32 v[34:35], v[30:31], v[48:49], v[34:35] op_sel_hi:[1,0,1]
	v_pk_fma_f32 v[30:31], v[30:31], v[48:49], v[34:35] op_sel:[1,1,0] op_sel_hi:[0,1,1] neg_hi:[0,1,0]
	v_pk_fma_f32 v[30:31], v[32:33], v[50:51], v[30:31] op_sel_hi:[1,0,1]
	v_mov_b32_e32 v34, v51
	v_pk_fma_f32 v[30:31], v[32:33], v[34:35], v[30:31] op_sel:[1,0,0] op_sel_hi:[0,0,1] neg_hi:[0,1,0]
	s_waitcnt lgkmcnt(0)
	v_pk_fma_f32 v[30:31], v[52:53], v[44:45], v[30:31] op_sel_hi:[1,0,1]
	v_pk_fma_f32 v[34:35], v[52:53], v[44:45], v[30:31] op_sel:[1,1,0] op_sel_hi:[0,1,1] neg_hi:[0,1,0]
	ds_read2_b64 v[30:33], v56 offset0:128 offset1:160
	ds_read_b128 v[48:51], v39 offset:96
	v_pk_fma_f32 v[34:35], v[54:55], v[46:47], v[34:35] op_sel_hi:[1,0,1]
	v_mov_b32_e32 v44, v47
	v_pk_fma_f32 v[34:35], v[54:55], v[44:45], v[34:35] op_sel:[1,0,0] op_sel_hi:[0,0,1] neg_hi:[0,1,0]
	ds_read_b128 v[44:47], v39 offset:112
	ds_read2_b64 v[52:55], v56 offset0:192 offset1:224
	s_waitcnt lgkmcnt(2)
	v_pk_fma_f32 v[34:35], v[30:31], v[48:49], v[34:35] op_sel_hi:[1,0,1]
	v_pk_fma_f32 v[30:31], v[30:31], v[48:49], v[34:35] op_sel:[1,1,0] op_sel_hi:[0,1,1] neg_hi:[0,1,0]
	v_pk_fma_f32 v[30:31], v[32:33], v[50:51], v[30:31] op_sel_hi:[1,0,1]
	v_mov_b32_e32 v34, v51
	v_pk_fma_f32 v[30:31], v[32:33], v[34:35], v[30:31] op_sel:[1,0,0] op_sel_hi:[0,0,1] neg_hi:[0,1,0]
	s_waitcnt lgkmcnt(0)
	v_pk_fma_f32 v[30:31], v[52:53], v[44:45], v[30:31] op_sel_hi:[1,0,1]
	v_add_u32_e32 v56, 0x1000, v38
	v_pk_fma_f32 v[34:35], v[52:53], v[44:45], v[30:31] op_sel:[1,1,0] op_sel_hi:[0,1,1] neg_hi:[0,1,0]
	ds_read2_b64 v[30:33], v56 offset1:32
	ds_read_b128 v[48:51], v39 offset:128
	v_pk_fma_f32 v[34:35], v[54:55], v[46:47], v[34:35] op_sel_hi:[1,0,1]
	v_mov_b32_e32 v44, v47
	v_pk_fma_f32 v[34:35], v[54:55], v[44:45], v[34:35] op_sel:[1,0,0] op_sel_hi:[0,0,1] neg_hi:[0,1,0]
	ds_read_b128 v[44:47], v39 offset:144
	ds_read2_b64 v[52:55], v56 offset0:64 offset1:96
	s_waitcnt lgkmcnt(2)
	v_pk_fma_f32 v[34:35], v[30:31], v[48:49], v[34:35] op_sel_hi:[1,0,1]
	v_pk_fma_f32 v[30:31], v[30:31], v[48:49], v[34:35] op_sel:[1,1,0] op_sel_hi:[0,1,1] neg_hi:[0,1,0]
	v_pk_fma_f32 v[30:31], v[32:33], v[50:51], v[30:31] op_sel_hi:[1,0,1]
	v_mov_b32_e32 v34, v51
	v_pk_fma_f32 v[30:31], v[32:33], v[34:35], v[30:31] op_sel:[1,0,0] op_sel_hi:[0,0,1] neg_hi:[0,1,0]
	s_waitcnt lgkmcnt(0)
	v_pk_fma_f32 v[30:31], v[52:53], v[44:45], v[30:31] op_sel_hi:[1,0,1]
	v_pk_fma_f32 v[34:35], v[52:53], v[44:45], v[30:31] op_sel:[1,1,0] op_sel_hi:[0,1,1] neg_hi:[0,1,0]
	ds_read2_b64 v[30:33], v56 offset0:128 offset1:160
	ds_read_b128 v[48:51], v39 offset:160
	v_pk_fma_f32 v[34:35], v[54:55], v[46:47], v[34:35] op_sel_hi:[1,0,1]
	v_mov_b32_e32 v44, v47
	v_pk_fma_f32 v[34:35], v[54:55], v[44:45], v[34:35] op_sel:[1,0,0] op_sel_hi:[0,0,1] neg_hi:[0,1,0]
	ds_read_b128 v[44:47], v39 offset:176
	ds_read2_b64 v[52:55], v56 offset0:192 offset1:224
	s_waitcnt lgkmcnt(2)
	v_pk_fma_f32 v[34:35], v[30:31], v[48:49], v[34:35] op_sel_hi:[1,0,1]
	v_pk_fma_f32 v[30:31], v[30:31], v[48:49], v[34:35] op_sel:[1,1,0] op_sel_hi:[0,1,1] neg_hi:[0,1,0]
	v_pk_fma_f32 v[30:31], v[32:33], v[50:51], v[30:31] op_sel_hi:[1,0,1]
	v_mov_b32_e32 v34, v51
	v_pk_fma_f32 v[30:31], v[32:33], v[34:35], v[30:31] op_sel:[1,0,0] op_sel_hi:[0,0,1] neg_hi:[0,1,0]
	s_waitcnt lgkmcnt(0)
	v_pk_fma_f32 v[30:31], v[52:53], v[44:45], v[30:31] op_sel_hi:[1,0,1]
	v_add_u32_e32 v56, 0x1800, v38
	v_pk_fma_f32 v[34:35], v[52:53], v[44:45], v[30:31] op_sel:[1,1,0] op_sel_hi:[0,1,1] neg_hi:[0,1,0]
	ds_read2_b64 v[30:33], v56 offset1:32
	ds_read_b128 v[48:51], v39 offset:192
	v_pk_fma_f32 v[34:35], v[54:55], v[46:47], v[34:35] op_sel_hi:[1,0,1]
	v_mov_b32_e32 v44, v47
	v_pk_fma_f32 v[34:35], v[54:55], v[44:45], v[34:35] op_sel:[1,0,0] op_sel_hi:[0,0,1] neg_hi:[0,1,0]
	ds_read_b128 v[44:47], v39 offset:208
	ds_read2_b64 v[52:55], v56 offset0:64 offset1:96
	s_waitcnt lgkmcnt(2)
	v_pk_fma_f32 v[34:35], v[30:31], v[48:49], v[34:35] op_sel_hi:[1,0,1]
	v_pk_fma_f32 v[30:31], v[30:31], v[48:49], v[34:35] op_sel:[1,1,0] op_sel_hi:[0,1,1] neg_hi:[0,1,0]
	v_pk_fma_f32 v[30:31], v[32:33], v[50:51], v[30:31] op_sel_hi:[1,0,1]
	v_mov_b32_e32 v34, v51
	v_pk_fma_f32 v[30:31], v[32:33], v[34:35], v[30:31] op_sel:[1,0,0] op_sel_hi:[0,0,1] neg_hi:[0,1,0]
	s_waitcnt lgkmcnt(0)
	v_pk_fma_f32 v[30:31], v[52:53], v[44:45], v[30:31] op_sel_hi:[1,0,1]
	v_pk_fma_f32 v[34:35], v[52:53], v[44:45], v[30:31] op_sel:[1,1,0] op_sel_hi:[0,1,1] neg_hi:[0,1,0]
	ds_read2_b64 v[30:33], v56 offset0:128 offset1:160
	ds_read_b128 v[48:51], v39 offset:224
	v_pk_fma_f32 v[34:35], v[54:55], v[46:47], v[34:35] op_sel_hi:[1,0,1]
	v_mov_b32_e32 v44, v47
	v_pk_fma_f32 v[34:35], v[54:55], v[44:45], v[34:35] op_sel:[1,0,0] op_sel_hi:[0,0,1] neg_hi:[0,1,0]
	ds_read_b128 v[44:47], v39 offset:240
	ds_read2_b64 v[52:55], v56 offset0:192 offset1:224
	s_waitcnt lgkmcnt(2)
	v_pk_fma_f32 v[34:35], v[30:31], v[48:49], v[34:35] op_sel_hi:[1,0,1]
	v_pk_fma_f32 v[30:31], v[30:31], v[48:49], v[34:35] op_sel:[1,1,0] op_sel_hi:[0,1,1] neg_hi:[0,1,0]
	v_pk_fma_f32 v[30:31], v[32:33], v[50:51], v[30:31] op_sel_hi:[1,0,1]
	v_mov_b32_e32 v34, v51
	v_pk_fma_f32 v[30:31], v[32:33], v[34:35], v[30:31] op_sel:[1,0,0] op_sel_hi:[0,0,1] neg_hi:[0,1,0]
	s_waitcnt lgkmcnt(0)
	v_pk_fma_f32 v[30:31], v[52:53], v[44:45], v[30:31] op_sel_hi:[1,0,1]
	v_pk_fma_f32 v[30:31], v[52:53], v[44:45], v[30:31] op_sel:[1,1,0] op_sel_hi:[0,1,1] neg_hi:[0,1,0]
	v_pk_fma_f32 v[30:31], v[54:55], v[46:47], v[30:31] op_sel_hi:[1,0,1]
	v_mov_b32_e32 v32, v47
	v_pk_fma_f32 v[30:31], v[54:55], v[32:33], v[30:31] op_sel:[1,0,0] op_sel_hi:[0,0,1] neg_hi:[0,1,0]
.LBB7_49:                               ;   in Loop: Header=BB7_22 Depth=3
	s_cbranch_execnz .LBB7_20
.LBB7_50:                               ;   in Loop: Header=BB7_22 Depth=3
	ds_read2_b64 v[30:33], v38 offset1:32
	ds_read_b128 v[44:47], v39
	ds_read_b128 v[48:51], v39 offset:16
	ds_read_b128 v[52:55], v39 offset:32
	;; [unrolled: 1-line block ×3, first 2 shown]
	s_waitcnt lgkmcnt(4)
	v_xor_b32_e32 v35, 0x80000000, v31
	v_mov_b32_e32 v34, v30
	s_waitcnt lgkmcnt(3)
	v_pk_fma_f32 v[28:29], v[34:35], v[44:45], v[28:29] op_sel_hi:[1,0,1]
	v_pk_fma_f32 v[34:35], v[30:31], v[44:45], v[28:29] op_sel:[1,1,0] op_sel_hi:[0,1,1] neg_lo:[0,1,0] neg_hi:[0,1,0]
	ds_read2_b64 v[28:31], v38 offset0:64 offset1:96
	v_xor_b32_e32 v45, 0x80000000, v33
	v_mov_b32_e32 v44, v32
	v_pk_fma_f32 v[34:35], v[44:45], v[46:47], v[34:35] op_sel_hi:[1,0,1]
	v_mov_b32_e32 v44, v47
	v_pk_fma_f32 v[32:33], v[32:33], v[44:45], v[34:35] op_sel:[1,0,0] op_sel_hi:[0,0,1] neg_lo:[0,1,0] neg_hi:[0,1,0]
	s_waitcnt lgkmcnt(0)
	v_xor_b32_e32 v35, 0x80000000, v29
	v_mov_b32_e32 v34, v28
	v_pk_fma_f32 v[32:33], v[34:35], v[48:49], v[32:33] op_sel_hi:[1,0,1]
	v_pk_fma_f32 v[28:29], v[28:29], v[48:49], v[32:33] op_sel:[1,1,0] op_sel_hi:[0,1,1] neg_lo:[0,1,0] neg_hi:[0,1,0]
	ds_read2_b64 v[32:35], v38 offset0:128 offset1:160
	v_xor_b32_e32 v45, 0x80000000, v31
	v_mov_b32_e32 v44, v30
	v_pk_fma_f32 v[28:29], v[44:45], v[50:51], v[28:29] op_sel_hi:[1,0,1]
	v_mov_b32_e32 v44, v51
	v_pk_fma_f32 v[28:29], v[30:31], v[44:45], v[28:29] op_sel:[1,0,0] op_sel_hi:[0,0,1] neg_lo:[0,1,0] neg_hi:[0,1,0]
	s_waitcnt lgkmcnt(0)
	v_xor_b32_e32 v31, 0x80000000, v33
	v_mov_b32_e32 v30, v32
	;; [unrolled: 11-line block ×3, first 2 shown]
	v_pk_fma_f32 v[32:33], v[34:35], v[56:57], v[32:33] op_sel_hi:[1,0,1]
	v_add_u32_e32 v52, 0x800, v38
	v_pk_fma_f32 v[28:29], v[28:29], v[56:57], v[32:33] op_sel:[1,1,0] op_sel_hi:[0,1,1] neg_lo:[0,1,0] neg_hi:[0,1,0]
	v_xor_b32_e32 v45, 0x80000000, v31
	v_mov_b32_e32 v44, v30
	ds_read2_b64 v[32:35], v52 offset1:32
	v_pk_fma_f32 v[28:29], v[44:45], v[58:59], v[28:29] op_sel_hi:[1,0,1]
	ds_read_b128 v[44:47], v39 offset:64
	v_mov_b32_e32 v48, v59
	v_pk_fma_f32 v[48:49], v[30:31], v[48:49], v[28:29] op_sel:[1,0,0] op_sel_hi:[0,0,1] neg_lo:[0,1,0] neg_hi:[0,1,0]
	ds_read_b128 v[28:31], v39 offset:80
	s_waitcnt lgkmcnt(2)
	v_xor_b32_e32 v51, 0x80000000, v33
	v_mov_b32_e32 v50, v32
	s_waitcnt lgkmcnt(1)
	v_pk_fma_f32 v[48:49], v[50:51], v[44:45], v[48:49] op_sel_hi:[1,0,1]
	v_pk_fma_f32 v[32:33], v[32:33], v[44:45], v[48:49] op_sel:[1,1,0] op_sel_hi:[0,1,1] neg_lo:[0,1,0] neg_hi:[0,1,0]
	ds_read2_b64 v[48:51], v52 offset0:64 offset1:96
	v_xor_b32_e32 v45, 0x80000000, v35
	v_mov_b32_e32 v44, v34
	v_pk_fma_f32 v[32:33], v[44:45], v[46:47], v[32:33] op_sel_hi:[1,0,1]
	v_mov_b32_e32 v44, v47
	v_pk_fma_f32 v[32:33], v[34:35], v[44:45], v[32:33] op_sel:[1,0,0] op_sel_hi:[0,0,1] neg_lo:[0,1,0] neg_hi:[0,1,0]
	s_waitcnt lgkmcnt(0)
	v_xor_b32_e32 v35, 0x80000000, v49
	v_mov_b32_e32 v34, v48
	v_pk_fma_f32 v[32:33], v[34:35], v[28:29], v[32:33] op_sel_hi:[1,0,1]
	v_pk_fma_f32 v[28:29], v[48:49], v[28:29], v[32:33] op_sel:[1,1,0] op_sel_hi:[0,1,1] neg_lo:[0,1,0] neg_hi:[0,1,0]
	v_xor_b32_e32 v45, 0x80000000, v51
	v_mov_b32_e32 v44, v50
	ds_read2_b64 v[32:35], v52 offset0:128 offset1:160
	v_pk_fma_f32 v[44:45], v[44:45], v[30:31], v[28:29] op_sel_hi:[1,0,1]
	v_mov_b32_e32 v46, v31
	ds_read_b128 v[28:31], v39 offset:96
	v_pk_fma_f32 v[48:49], v[50:51], v[46:47], v[44:45] op_sel:[1,0,0] op_sel_hi:[0,0,1] neg_lo:[0,1,0] neg_hi:[0,1,0]
	ds_read_b128 v[44:47], v39 offset:112
	s_waitcnt lgkmcnt(2)
	v_xor_b32_e32 v51, 0x80000000, v33
	v_mov_b32_e32 v50, v32
	s_waitcnt lgkmcnt(1)
	v_pk_fma_f32 v[48:49], v[50:51], v[28:29], v[48:49] op_sel_hi:[1,0,1]
	v_pk_fma_f32 v[28:29], v[32:33], v[28:29], v[48:49] op_sel:[1,1,0] op_sel_hi:[0,1,1] neg_lo:[0,1,0] neg_hi:[0,1,0]
	ds_read2_b64 v[48:51], v52 offset0:192 offset1:224
	v_xor_b32_e32 v33, 0x80000000, v35
	v_mov_b32_e32 v32, v34
	v_pk_fma_f32 v[28:29], v[32:33], v[30:31], v[28:29] op_sel_hi:[1,0,1]
	v_mov_b32_e32 v30, v31
	v_pk_fma_f32 v[28:29], v[34:35], v[30:31], v[28:29] op_sel:[1,0,0] op_sel_hi:[0,0,1] neg_lo:[0,1,0] neg_hi:[0,1,0]
	s_waitcnt lgkmcnt(0)
	v_xor_b32_e32 v31, 0x80000000, v49
	v_mov_b32_e32 v30, v48
	v_pk_fma_f32 v[28:29], v[30:31], v[44:45], v[28:29] op_sel_hi:[1,0,1]
	v_add_u32_e32 v52, 0x1000, v38
	v_pk_fma_f32 v[32:33], v[48:49], v[44:45], v[28:29] op_sel:[1,1,0] op_sel_hi:[0,1,1] neg_lo:[0,1,0] neg_hi:[0,1,0]
	v_xor_b32_e32 v35, 0x80000000, v51
	v_mov_b32_e32 v34, v50
	ds_read2_b64 v[28:31], v52 offset1:32
	v_pk_fma_f32 v[44:45], v[34:35], v[46:47], v[32:33] op_sel_hi:[1,0,1]
	ds_read_b128 v[32:35], v39 offset:128
	v_mov_b32_e32 v46, v47
	v_pk_fma_f32 v[48:49], v[50:51], v[46:47], v[44:45] op_sel:[1,0,0] op_sel_hi:[0,0,1] neg_lo:[0,1,0] neg_hi:[0,1,0]
	ds_read_b128 v[44:47], v39 offset:144
	s_waitcnt lgkmcnt(2)
	v_xor_b32_e32 v51, 0x80000000, v29
	v_mov_b32_e32 v50, v28
	s_waitcnt lgkmcnt(1)
	v_pk_fma_f32 v[48:49], v[50:51], v[32:33], v[48:49] op_sel_hi:[1,0,1]
	v_pk_fma_f32 v[28:29], v[28:29], v[32:33], v[48:49] op_sel:[1,1,0] op_sel_hi:[0,1,1] neg_lo:[0,1,0] neg_hi:[0,1,0]
	ds_read2_b64 v[48:51], v52 offset0:64 offset1:96
	v_xor_b32_e32 v33, 0x80000000, v31
	v_mov_b32_e32 v32, v30
	v_pk_fma_f32 v[28:29], v[32:33], v[34:35], v[28:29] op_sel_hi:[1,0,1]
	v_mov_b32_e32 v32, v35
	v_pk_fma_f32 v[28:29], v[30:31], v[32:33], v[28:29] op_sel:[1,0,0] op_sel_hi:[0,0,1] neg_lo:[0,1,0] neg_hi:[0,1,0]
	s_waitcnt lgkmcnt(0)
	v_xor_b32_e32 v31, 0x80000000, v49
	v_mov_b32_e32 v30, v48
	v_pk_fma_f32 v[28:29], v[30:31], v[44:45], v[28:29] op_sel_hi:[1,0,1]
	v_pk_fma_f32 v[32:33], v[48:49], v[44:45], v[28:29] op_sel:[1,1,0] op_sel_hi:[0,1,1] neg_lo:[0,1,0] neg_hi:[0,1,0]
	v_xor_b32_e32 v35, 0x80000000, v51
	v_mov_b32_e32 v34, v50
	ds_read2_b64 v[28:31], v52 offset0:128 offset1:160
	v_pk_fma_f32 v[44:45], v[34:35], v[46:47], v[32:33] op_sel_hi:[1,0,1]
	ds_read_b128 v[32:35], v39 offset:160
	v_mov_b32_e32 v46, v47
	v_pk_fma_f32 v[48:49], v[50:51], v[46:47], v[44:45] op_sel:[1,0,0] op_sel_hi:[0,0,1] neg_lo:[0,1,0] neg_hi:[0,1,0]
	ds_read_b128 v[44:47], v39 offset:176
	s_waitcnt lgkmcnt(2)
	v_xor_b32_e32 v51, 0x80000000, v29
	v_mov_b32_e32 v50, v28
	s_waitcnt lgkmcnt(1)
	v_pk_fma_f32 v[48:49], v[50:51], v[32:33], v[48:49] op_sel_hi:[1,0,1]
	v_pk_fma_f32 v[28:29], v[28:29], v[32:33], v[48:49] op_sel:[1,1,0] op_sel_hi:[0,1,1] neg_lo:[0,1,0] neg_hi:[0,1,0]
	ds_read2_b64 v[48:51], v52 offset0:192 offset1:224
	v_xor_b32_e32 v33, 0x80000000, v31
	v_mov_b32_e32 v32, v30
	v_pk_fma_f32 v[28:29], v[32:33], v[34:35], v[28:29] op_sel_hi:[1,0,1]
	v_mov_b32_e32 v32, v35
	v_pk_fma_f32 v[28:29], v[30:31], v[32:33], v[28:29] op_sel:[1,0,0] op_sel_hi:[0,0,1] neg_lo:[0,1,0] neg_hi:[0,1,0]
	s_waitcnt lgkmcnt(0)
	v_xor_b32_e32 v31, 0x80000000, v49
	v_mov_b32_e32 v30, v48
	v_pk_fma_f32 v[28:29], v[30:31], v[44:45], v[28:29] op_sel_hi:[1,0,1]
	v_add_u32_e32 v52, 0x1800, v38
	v_pk_fma_f32 v[32:33], v[48:49], v[44:45], v[28:29] op_sel:[1,1,0] op_sel_hi:[0,1,1] neg_lo:[0,1,0] neg_hi:[0,1,0]
	v_xor_b32_e32 v35, 0x80000000, v51
	v_mov_b32_e32 v34, v50
	ds_read2_b64 v[28:31], v52 offset1:32
	v_pk_fma_f32 v[44:45], v[34:35], v[46:47], v[32:33] op_sel_hi:[1,0,1]
	ds_read_b128 v[32:35], v39 offset:192
	v_mov_b32_e32 v46, v47
	v_pk_fma_f32 v[48:49], v[50:51], v[46:47], v[44:45] op_sel:[1,0,0] op_sel_hi:[0,0,1] neg_lo:[0,1,0] neg_hi:[0,1,0]
	ds_read_b128 v[44:47], v39 offset:208
	s_waitcnt lgkmcnt(2)
	v_xor_b32_e32 v51, 0x80000000, v29
	v_mov_b32_e32 v50, v28
	s_waitcnt lgkmcnt(1)
	v_pk_fma_f32 v[48:49], v[50:51], v[32:33], v[48:49] op_sel_hi:[1,0,1]
	v_pk_fma_f32 v[28:29], v[28:29], v[32:33], v[48:49] op_sel:[1,1,0] op_sel_hi:[0,1,1] neg_lo:[0,1,0] neg_hi:[0,1,0]
	ds_read2_b64 v[48:51], v52 offset0:64 offset1:96
	v_xor_b32_e32 v33, 0x80000000, v31
	v_mov_b32_e32 v32, v30
	v_pk_fma_f32 v[28:29], v[32:33], v[34:35], v[28:29] op_sel_hi:[1,0,1]
	v_mov_b32_e32 v32, v35
	v_pk_fma_f32 v[28:29], v[30:31], v[32:33], v[28:29] op_sel:[1,0,0] op_sel_hi:[0,0,1] neg_lo:[0,1,0] neg_hi:[0,1,0]
	s_waitcnt lgkmcnt(0)
	v_xor_b32_e32 v31, 0x80000000, v49
	v_mov_b32_e32 v30, v48
	v_pk_fma_f32 v[28:29], v[30:31], v[44:45], v[28:29] op_sel_hi:[1,0,1]
	v_pk_fma_f32 v[32:33], v[48:49], v[44:45], v[28:29] op_sel:[1,1,0] op_sel_hi:[0,1,1] neg_lo:[0,1,0] neg_hi:[0,1,0]
	v_xor_b32_e32 v35, 0x80000000, v51
	v_mov_b32_e32 v34, v50
	ds_read2_b64 v[28:31], v52 offset0:128 offset1:160
	v_pk_fma_f32 v[44:45], v[34:35], v[46:47], v[32:33] op_sel_hi:[1,0,1]
	ds_read_b128 v[32:35], v39 offset:224
	v_mov_b32_e32 v46, v47
	v_pk_fma_f32 v[48:49], v[50:51], v[46:47], v[44:45] op_sel:[1,0,0] op_sel_hi:[0,0,1] neg_lo:[0,1,0] neg_hi:[0,1,0]
	ds_read_b128 v[44:47], v39 offset:240
	s_waitcnt lgkmcnt(2)
	v_xor_b32_e32 v51, 0x80000000, v29
	v_mov_b32_e32 v50, v28
	s_waitcnt lgkmcnt(1)
	v_pk_fma_f32 v[48:49], v[50:51], v[32:33], v[48:49] op_sel_hi:[1,0,1]
	v_pk_fma_f32 v[28:29], v[28:29], v[32:33], v[48:49] op_sel:[1,1,0] op_sel_hi:[0,1,1] neg_lo:[0,1,0] neg_hi:[0,1,0]
	ds_read2_b64 v[48:51], v52 offset0:192 offset1:224
	v_xor_b32_e32 v33, 0x80000000, v31
	v_mov_b32_e32 v32, v30
	v_pk_fma_f32 v[28:29], v[32:33], v[34:35], v[28:29] op_sel_hi:[1,0,1]
	v_mov_b32_e32 v32, v35
	v_pk_fma_f32 v[28:29], v[30:31], v[32:33], v[28:29] op_sel:[1,0,0] op_sel_hi:[0,0,1] neg_lo:[0,1,0] neg_hi:[0,1,0]
	s_waitcnt lgkmcnt(0)
	v_xor_b32_e32 v31, 0x80000000, v49
	v_mov_b32_e32 v30, v48
	v_pk_fma_f32 v[28:29], v[30:31], v[44:45], v[28:29] op_sel_hi:[1,0,1]
	v_pk_fma_f32 v[28:29], v[48:49], v[44:45], v[28:29] op_sel:[1,1,0] op_sel_hi:[0,1,1] neg_lo:[0,1,0] neg_hi:[0,1,0]
	v_xor_b32_e32 v31, 0x80000000, v51
	v_mov_b32_e32 v30, v50
	v_pk_fma_f32 v[28:29], v[30:31], v[46:47], v[28:29] op_sel_hi:[1,0,1]
	v_mov_b32_e32 v30, v47
	v_pk_fma_f32 v[30:31], v[50:51], v[30:31], v[28:29] op_sel:[1,0,0] op_sel_hi:[0,0,1] neg_lo:[0,1,0] neg_hi:[0,1,0]
	s_branch .LBB7_20
.LBB7_51:                               ;   in Loop: Header=BB7_16 Depth=1
	v_mov_b32_e32 v22, s5
	v_add_co_u32_e32 v24, vcc, s4, v20
	v_addc_co_u32_e32 v25, vcc, v21, v22, vcc
	s_and_b64 vcc, exec, s[24:25]
	s_cbranch_vccz .LBB7_53
; %bb.52:                               ;   in Loop: Header=BB7_16 Depth=1
	v_mad_u64_u32 v[22:23], s[2:3], v24, s10, v[8:9]
	v_mul_lo_u32 v26, v24, s11
	v_mul_lo_u32 v27, v25, s10
	v_add3_u32 v23, v27, v23, v26
	s_cbranch_execz .LBB7_54
	s_branch .LBB7_55
.LBB7_53:                               ;   in Loop: Header=BB7_16 Depth=1
                                        ; implicit-def: $vgpr22_vgpr23
.LBB7_54:                               ;   in Loop: Header=BB7_16 Depth=1
	v_add_co_u32_e32 v22, vcc, v24, v10
	v_addc_co_u32_e32 v23, vcc, v25, v11, vcc
.LBB7_55:                               ;   in Loop: Header=BB7_16 Depth=1
	v_cmp_gt_i64_e32 vcc, s[26:27], v[20:21]
	s_and_b64 s[54:55], s[42:43], vcc
	s_and_saveexec_b64 s[2:3], s[54:55]
	s_cbranch_execz .LBB7_15
; %bb.56:                               ;   in Loop: Header=BB7_16 Depth=1
	v_pk_mul_f32 v[20:21], v[28:29], v[12:13] op_sel:[1,0]
	v_lshlrev_b64 v[22:23], 3, v[22:23]
	v_pk_fma_f32 v[20:21], v[2:3], v[28:29], v[20:21] op_sel_hi:[1,0,1]
	s_and_saveexec_b64 s[54:55], s[44:45]
	s_xor_b64 s[54:55], exec, s[54:55]
	s_cbranch_execz .LBB7_58
; %bb.57:                               ;   in Loop: Header=BB7_16 Depth=1
	v_mov_b32_e32 v24, s9
	v_add_co_u32_e32 v22, vcc, s8, v22
	v_addc_co_u32_e32 v23, vcc, v24, v23, vcc
	global_load_dwordx2 v[24:25], v[22:23], off
	s_waitcnt vmcnt(0)
	v_pk_fma_f32 v[20:21], v[4:5], v[24:25], v[20:21] op_sel_hi:[1,0,1]
	v_pk_fma_f32 v[20:21], v[14:15], v[24:25], v[20:21] op_sel:[0,1,0]
	global_store_dwordx2 v[22:23], v[20:21], off
                                        ; implicit-def: $vgpr22_vgpr23
                                        ; implicit-def: $vgpr20_vgpr21
.LBB7_58:                               ;   in Loop: Header=BB7_16 Depth=1
	s_andn2_saveexec_b64 s[54:55], s[54:55]
	s_cbranch_execz .LBB7_15
; %bb.59:                               ;   in Loop: Header=BB7_16 Depth=1
	v_mov_b32_e32 v24, s9
	v_add_co_u32_e32 v22, vcc, s8, v22
	v_addc_co_u32_e32 v23, vcc, v24, v23, vcc
	global_store_dwordx2 v[22:23], v[20:21], off
	s_branch .LBB7_15
.LBB7_60:
	s_endpgm
.LBB7_61:
	v_pk_mov_b32 v[4:5], s[16:17], s[16:17] op_sel:[0,1]
	flat_load_dword v3, v[4:5] offset:4
	s_and_b64 vcc, exec, s[0:1]
	v_mov_b32_e32 v4, s2
	s_cbranch_vccnz .LBB7_4
.LBB7_62:
	v_pk_mov_b32 v[4:5], s[2:3], s[2:3] op_sel:[0,1]
	flat_load_dword v4, v[4:5]
	s_and_b64 vcc, exec, s[0:1]
	v_mov_b32_e32 v5, s3
	s_cbranch_vccz .LBB7_5
	s_branch .LBB7_6
.LBB7_63:
                                        ; implicit-def: $sgpr28_sgpr29
	s_branch .LBB7_12
	.section	.rodata,"a",@progbits
	.p2align	6, 0x0
	.amdhsa_kernel _ZN9rocsparseL30bellmm_general_blockdim_kernelILi32ELi32E21rocsparse_complex_numIfElS2_S2_S2_EEv20rocsparse_operation_S3_20rocsparse_direction_T2_S5_NS_24const_host_device_scalarIT1_EES5_S5_PKS5_PKT3_PKT4_l16rocsparse_order_S8_PT5_lSH_21rocsparse_index_base_b
		.amdhsa_group_segment_fixed_size 16384
		.amdhsa_private_segment_fixed_size 0
		.amdhsa_kernarg_size 132
		.amdhsa_user_sgpr_count 6
		.amdhsa_user_sgpr_private_segment_buffer 1
		.amdhsa_user_sgpr_dispatch_ptr 0
		.amdhsa_user_sgpr_queue_ptr 0
		.amdhsa_user_sgpr_kernarg_segment_ptr 1
		.amdhsa_user_sgpr_dispatch_id 0
		.amdhsa_user_sgpr_flat_scratch_init 0
		.amdhsa_user_sgpr_kernarg_preload_length 0
		.amdhsa_user_sgpr_kernarg_preload_offset 0
		.amdhsa_user_sgpr_private_segment_size 0
		.amdhsa_uses_dynamic_stack 0
		.amdhsa_system_sgpr_private_segment_wavefront_offset 0
		.amdhsa_system_sgpr_workgroup_id_x 1
		.amdhsa_system_sgpr_workgroup_id_y 1
		.amdhsa_system_sgpr_workgroup_id_z 0
		.amdhsa_system_sgpr_workgroup_info 0
		.amdhsa_system_vgpr_workitem_id 1
		.amdhsa_next_free_vgpr 64
		.amdhsa_next_free_sgpr 72
		.amdhsa_accum_offset 64
		.amdhsa_reserve_vcc 1
		.amdhsa_reserve_flat_scratch 0
		.amdhsa_float_round_mode_32 0
		.amdhsa_float_round_mode_16_64 0
		.amdhsa_float_denorm_mode_32 3
		.amdhsa_float_denorm_mode_16_64 3
		.amdhsa_dx10_clamp 1
		.amdhsa_ieee_mode 1
		.amdhsa_fp16_overflow 0
		.amdhsa_tg_split 0
		.amdhsa_exception_fp_ieee_invalid_op 0
		.amdhsa_exception_fp_denorm_src 0
		.amdhsa_exception_fp_ieee_div_zero 0
		.amdhsa_exception_fp_ieee_overflow 0
		.amdhsa_exception_fp_ieee_underflow 0
		.amdhsa_exception_fp_ieee_inexact 0
		.amdhsa_exception_int_div_zero 0
	.end_amdhsa_kernel
	.section	.text._ZN9rocsparseL30bellmm_general_blockdim_kernelILi32ELi32E21rocsparse_complex_numIfElS2_S2_S2_EEv20rocsparse_operation_S3_20rocsparse_direction_T2_S5_NS_24const_host_device_scalarIT1_EES5_S5_PKS5_PKT3_PKT4_l16rocsparse_order_S8_PT5_lSH_21rocsparse_index_base_b,"axG",@progbits,_ZN9rocsparseL30bellmm_general_blockdim_kernelILi32ELi32E21rocsparse_complex_numIfElS2_S2_S2_EEv20rocsparse_operation_S3_20rocsparse_direction_T2_S5_NS_24const_host_device_scalarIT1_EES5_S5_PKS5_PKT3_PKT4_l16rocsparse_order_S8_PT5_lSH_21rocsparse_index_base_b,comdat
.Lfunc_end7:
	.size	_ZN9rocsparseL30bellmm_general_blockdim_kernelILi32ELi32E21rocsparse_complex_numIfElS2_S2_S2_EEv20rocsparse_operation_S3_20rocsparse_direction_T2_S5_NS_24const_host_device_scalarIT1_EES5_S5_PKS5_PKT3_PKT4_l16rocsparse_order_S8_PT5_lSH_21rocsparse_index_base_b, .Lfunc_end7-_ZN9rocsparseL30bellmm_general_blockdim_kernelILi32ELi32E21rocsparse_complex_numIfElS2_S2_S2_EEv20rocsparse_operation_S3_20rocsparse_direction_T2_S5_NS_24const_host_device_scalarIT1_EES5_S5_PKS5_PKT3_PKT4_l16rocsparse_order_S8_PT5_lSH_21rocsparse_index_base_b
                                        ; -- End function
	.section	.AMDGPU.csdata,"",@progbits
; Kernel info:
; codeLenInByte = 7084
; NumSgprs: 76
; NumVgprs: 64
; NumAgprs: 0
; TotalNumVgprs: 64
; ScratchSize: 0
; MemoryBound: 0
; FloatMode: 240
; IeeeMode: 1
; LDSByteSize: 16384 bytes/workgroup (compile time only)
; SGPRBlocks: 9
; VGPRBlocks: 7
; NumSGPRsForWavesPerEU: 76
; NumVGPRsForWavesPerEU: 64
; AccumOffset: 64
; Occupancy: 8
; WaveLimiterHint : 1
; COMPUTE_PGM_RSRC2:SCRATCH_EN: 0
; COMPUTE_PGM_RSRC2:USER_SGPR: 6
; COMPUTE_PGM_RSRC2:TRAP_HANDLER: 0
; COMPUTE_PGM_RSRC2:TGID_X_EN: 1
; COMPUTE_PGM_RSRC2:TGID_Y_EN: 1
; COMPUTE_PGM_RSRC2:TGID_Z_EN: 0
; COMPUTE_PGM_RSRC2:TIDIG_COMP_CNT: 1
; COMPUTE_PGM_RSRC3_GFX90A:ACCUM_OFFSET: 15
; COMPUTE_PGM_RSRC3_GFX90A:TG_SPLIT: 0
	.section	.text._ZN9rocsparseL30bellmm_general_blockdim_kernelILi32ELi32E21rocsparse_complex_numIdEiS2_S2_S2_EEv20rocsparse_operation_S3_20rocsparse_direction_T2_S5_NS_24const_host_device_scalarIT1_EES5_S5_PKS5_PKT3_PKT4_l16rocsparse_order_S8_PT5_lSH_21rocsparse_index_base_b,"axG",@progbits,_ZN9rocsparseL30bellmm_general_blockdim_kernelILi32ELi32E21rocsparse_complex_numIdEiS2_S2_S2_EEv20rocsparse_operation_S3_20rocsparse_direction_T2_S5_NS_24const_host_device_scalarIT1_EES5_S5_PKS5_PKT3_PKT4_l16rocsparse_order_S8_PT5_lSH_21rocsparse_index_base_b,comdat
	.globl	_ZN9rocsparseL30bellmm_general_blockdim_kernelILi32ELi32E21rocsparse_complex_numIdEiS2_S2_S2_EEv20rocsparse_operation_S3_20rocsparse_direction_T2_S5_NS_24const_host_device_scalarIT1_EES5_S5_PKS5_PKT3_PKT4_l16rocsparse_order_S8_PT5_lSH_21rocsparse_index_base_b ; -- Begin function _ZN9rocsparseL30bellmm_general_blockdim_kernelILi32ELi32E21rocsparse_complex_numIdEiS2_S2_S2_EEv20rocsparse_operation_S3_20rocsparse_direction_T2_S5_NS_24const_host_device_scalarIT1_EES5_S5_PKS5_PKT3_PKT4_l16rocsparse_order_S8_PT5_lSH_21rocsparse_index_base_b
	.p2align	8
	.type	_ZN9rocsparseL30bellmm_general_blockdim_kernelILi32ELi32E21rocsparse_complex_numIdEiS2_S2_S2_EEv20rocsparse_operation_S3_20rocsparse_direction_T2_S5_NS_24const_host_device_scalarIT1_EES5_S5_PKS5_PKT3_PKT4_l16rocsparse_order_S8_PT5_lSH_21rocsparse_index_base_b,@function
_ZN9rocsparseL30bellmm_general_blockdim_kernelILi32ELi32E21rocsparse_complex_numIdEiS2_S2_S2_EEv20rocsparse_operation_S3_20rocsparse_direction_T2_S5_NS_24const_host_device_scalarIT1_EES5_S5_PKS5_PKT3_PKT4_l16rocsparse_order_S8_PT5_lSH_21rocsparse_index_base_b: ; @_ZN9rocsparseL30bellmm_general_blockdim_kernelILi32ELi32E21rocsparse_complex_numIdEiS2_S2_S2_EEv20rocsparse_operation_S3_20rocsparse_direction_T2_S5_NS_24const_host_device_scalarIT1_EES5_S5_PKS5_PKT3_PKT4_l16rocsparse_order_S8_PT5_lSH_21rocsparse_index_base_b
; %bb.0:
	s_add_u32 flat_scratch_lo, s6, s10
	s_load_dwordx4 s[20:23], s[4:5], 0x78
	s_load_dwordx4 s[16:19], s[4:5], 0x18
	s_addc_u32 flat_scratch_hi, s7, 0
	s_add_u32 s0, s0, s10
	s_load_dwordx4 s[12:15], s[4:5], 0x58
	s_addc_u32 s1, s1, 0
	s_waitcnt lgkmcnt(0)
	s_bitcmp1_b32 s22, 0
	v_mov_b32_e32 v1, 0
	v_mov_b32_e32 v3, s16
	s_cselect_b64 s[6:7], -1, 0
	v_cndmask_b32_e64 v2, v3, v1, s[6:7]
	v_mov_b32_e32 v1, s17
	s_mov_b64 s[10:11], src_private_base
	s_and_b64 vcc, s[6:7], exec
	buffer_store_dword v1, off, s[0:3], 0 offset:4
	buffer_store_dword v3, off, s[0:3], 0
	v_mov_b32_e32 v1, s13
	s_cselect_b32 s10, s11, s17
	buffer_store_dword v1, off, s[0:3], 0 offset:12
	v_mov_b32_e32 v1, s12
	buffer_store_dword v1, off, s[0:3], 0 offset:8
	v_mov_b32_e32 v3, s10
	flat_load_dwordx2 v[32:33], v[2:3]
	s_xor_b64 s[22:23], s[6:7], -1
	v_pk_mov_b32 v[34:35], s[18:19], s[18:19] op_sel:[0,1]
	s_cbranch_vccnz .LBB8_2
; %bb.1:
	v_pk_mov_b32 v[2:3], s[16:17], s[16:17] op_sel:[0,1]
	flat_load_dwordx2 v[34:35], v[2:3] offset:8
.LBB8_2:
	s_and_b64 s[16:17], s[6:7], exec
	s_cselect_b32 s10, s11, s13
	v_mov_b32_e32 v1, 8
	v_mov_b32_e32 v2, s12
	v_cndmask_b32_e64 v2, v2, v1, s[6:7]
	v_mov_b32_e32 v3, s10
	flat_load_dwordx2 v[36:37], v[2:3]
	s_andn2_b64 vcc, exec, s[22:23]
	v_pk_mov_b32 v[38:39], s[14:15], s[14:15] op_sel:[0,1]
	s_cbranch_vccnz .LBB8_4
; %bb.3:
	v_pk_mov_b32 v[2:3], s[12:13], s[12:13] op_sel:[0,1]
	flat_load_dwordx2 v[38:39], v[2:3] offset:8
.LBB8_4:
	s_waitcnt vmcnt(0) lgkmcnt(0)
	v_cmp_eq_f64_e32 vcc, 0, v[32:33]
	v_cmp_eq_f64_e64 s[6:7], 0, v[34:35]
	s_and_b64 s[12:13], vcc, s[6:7]
	s_mov_b64 s[6:7], -1
	s_and_saveexec_b64 s[10:11], s[12:13]
; %bb.5:
	v_cmp_neq_f64_e32 vcc, 1.0, v[36:37]
	v_cmp_neq_f64_e64 s[6:7], 0, v[38:39]
	s_or_b64 s[6:7], vcc, s[6:7]
	s_orn2_b64 s[6:7], s[6:7], exec
; %bb.6:
	s_or_b64 exec, exec, s[10:11]
	s_and_saveexec_b64 s[10:11], s[6:7]
	s_cbranch_execz .LBB8_60
; %bb.7:
	s_load_dwordx4 s[24:27], s[4:5], 0x0
	s_load_dwordx2 s[22:23], s[4:5], 0x28
	s_mov_b32 s33, 0
	s_waitcnt lgkmcnt(0)
	s_cmp_lt_i32 s8, s27
	s_cselect_b64 s[6:7], -1, 0
	s_cmp_ge_i32 s8, s27
	s_cbranch_scc1 .LBB8_9
; %bb.8:
	s_abs_i32 s10, s23
	v_cvt_f32_u32_e32 v1, s10
	s_sub_i32 s13, 0, s10
	s_abs_i32 s12, s22
	s_xor_b32 s11, s22, s23
	v_rcp_iflag_f32_e32 v1, v1
	s_ashr_i32 s11, s11, 31
	v_mul_f32_e32 v1, 0x4f7ffffe, v1
	v_cvt_u32_f32_e32 v1, v1
	v_readfirstlane_b32 s14, v1
	s_mul_i32 s13, s13, s14
	s_mul_hi_u32 s13, s14, s13
	s_add_i32 s14, s14, s13
	s_mul_hi_u32 s13, s12, s14
	s_mul_i32 s14, s13, s10
	s_sub_i32 s12, s12, s14
	s_add_i32 s15, s13, 1
	s_sub_i32 s14, s12, s10
	s_cmp_ge_u32 s12, s10
	s_cselect_b32 s13, s15, s13
	s_cselect_b32 s12, s14, s12
	s_add_i32 s14, s13, 1
	s_cmp_ge_u32 s12, s10
	s_cselect_b32 s10, s14, s13
	s_xor_b32 s10, s10, s11
	s_sub_i32 s33, s10, s11
.LBB8_9:
	s_cmp_lt_i32 s23, 1
	s_cbranch_scc1 .LBB8_60
; %bb.10:
	s_load_dwordx8 s[12:19], s[4:5], 0x30
	s_load_dword s34, s[4:5], 0x10
	v_bfe_u32 v40, v0, 10, 10
	s_load_dwordx4 s[28:31], s[4:5], 0x68
	s_load_dword s35, s[4:5], 0x50
	v_lshl_add_u32 v42, s9, 5, v40
	v_ashrrev_i32_e32 v43, 31, v42
	v_and_b32_e32 v41, 0x3ff, v0
	s_waitcnt lgkmcnt(0)
	v_mul_lo_u32 v2, v43, s18
	v_mul_lo_u32 v3, v42, s19
	v_mad_u64_u32 v[0:1], s[4:5], v42, s18, 0
	s_cmp_gt_i32 s33, 0
	v_add3_u32 v1, v1, v3, v2
	s_cselect_b64 s[10:11], -1, 0
	v_lshlrev_b64 v[2:3], 4, v[42:43]
	s_cmpk_eq_i32 s25, 0x6f
	v_mov_b32_e32 v4, s17
	v_add_co_u32_e32 v51, vcc, s16, v2
	s_cselect_b64 s[44:45], -1, 0
	s_cmp_lg_u32 s35, 1
	v_addc_co_u32_e32 v58, vcc, v4, v3, vcc
	s_cselect_b64 s[46:47], -1, 0
	v_lshlrev_b64 v[0:1], 4, v[0:1]
	s_cmp_lg_u32 s26, 0
	v_add_co_u32_e32 v61, vcc, s16, v0
	s_cselect_b64 s[16:17], -1, 0
	s_cmpk_eq_i32 s25, 0x71
	s_cselect_b64 s[36:37], -1, 0
	s_cmpk_lg_i32 s25, 0x71
	v_cmp_gt_i32_e64 s[4:5], s34, v42
	s_cselect_b64 s[34:35], -1, 0
	s_cmpk_lg_i32 s24, 0x71
	s_cselect_b64 s[38:39], -1, 0
	s_or_b64 s[24:25], s[38:39], s[34:35]
	s_and_b64 s[34:35], s[38:39], s[36:37]
	s_xor_b64 s[34:35], s[34:35], -1
	s_or_b64 s[36:37], s[38:39], s[36:37]
	v_addc_co_u32_e32 v62, vcc, v4, v1, vcc
	s_cmp_lg_u32 s20, 1
	v_mul_lo_u32 v0, v43, s30
	v_mul_lo_u32 v1, v42, s31
	v_mad_u64_u32 v[44:45], s[40:41], v42, s30, 0
	s_mul_i32 s9, s8, s23
	s_cselect_b64 s[38:39], -1, 0
	v_add3_u32 v45, v45, v1, v0
	s_and_b64 s[40:41], s[6:7], s[4:5]
	v_cmp_neq_f64_e32 vcc, 0, v[36:37]
	v_cmp_neq_f64_e64 s[6:7], 0, v[38:39]
	v_mov_b32_e32 v0, 0x4000
	v_lshlrev_b32_e32 v2, 5, v40
	s_or_b64 s[42:43], vcc, s[6:7]
	s_xor_b64 s[6:7], s[44:45], s[46:47]
	v_lshl_add_u32 v64, v40, 9, v0
	v_add_u32_e32 v0, s9, v41
	v_add_lshl_u32 v59, v2, v41, 4
	s_xor_b64 s[44:45], s[6:7], -1
	v_mad_u64_u32 v[46:47], s[6:7], s23, v0, v[40:41]
	s_mul_i32 s26, s23, s23
	v_cndmask_b32_e64 v0, 0, 1, s[10:11]
	s_mov_b32 s22, 0
	v_add_u32_e32 v60, 0x4000, v59
	v_lshlrev_b32_e32 v63, 4, v41
	s_lshl_b32 s20, s23, 5
	s_mul_i32 s26, s26, s27
	v_cmp_ne_u32_e64 s[6:7], 1, v0
	v_mov_b32_e32 v49, 0
	s_branch .LBB8_12
.LBB8_11:                               ;   in Loop: Header=BB8_12 Depth=1
	s_or_b64 exec, exec, s[10:11]
	s_add_i32 s22, s22, 32
	s_cmp_lt_i32 s22, s23
	v_add_u32_e32 v46, s20, v46
	s_cbranch_scc0 .LBB8_60
.LBB8_12:                               ; =>This Loop Header: Depth=1
                                        ;     Child Loop BB8_15 Depth 2
                                        ;       Child Loop BB8_18 Depth 3
	v_add_u32_e32 v50, s22, v41
	v_pk_mov_b32 v[52:53], 0, 0
	s_and_b64 vcc, exec, s[6:7]
	v_cmp_gt_i32_e64 s[10:11], s23, v50
	v_pk_mov_b32 v[54:55], v[52:53], v[52:53] op_sel:[0,1]
	s_cbranch_vccnz .LBB8_51
; %bb.13:                               ;   in Loop: Header=BB8_12 Depth=1
	v_pk_mov_b32 v[52:53], 0, 0
	s_mov_b32 s56, 0
	v_mov_b32_e32 v47, v46
	v_pk_mov_b32 v[54:55], v[52:53], v[52:53] op_sel:[0,1]
	s_branch .LBB8_15
.LBB8_14:                               ;   in Loop: Header=BB8_15 Depth=2
	s_add_i32 s56, s56, 1
	s_cmp_eq_u32 s56, s33
	v_add_u32_e32 v47, s26, v47
	s_cbranch_scc1 .LBB8_51
.LBB8_15:                               ;   Parent Loop BB8_12 Depth=1
                                        ; =>  This Loop Header: Depth=2
                                        ;       Child Loop BB8_18 Depth 3
	s_mul_i32 s46, s56, s27
	s_add_i32 s46, s46, s8
	s_ashr_i32 s47, s46, 31
	s_lshl_b64 s[48:49], s[46:47], 2
	s_add_u32 s48, s12, s48
	s_addc_u32 s49, s13, s49
	s_load_dword s47, s[48:49], 0x0
	s_mul_i32 s57, s46, s23
	s_mov_b32 s58, 0
	s_waitcnt lgkmcnt(0)
	s_sub_i32 s46, s47, s21
	s_cmp_gt_i32 s46, -1
	s_mul_i32 s48, s46, s23
	s_cselect_b64 s[46:47], -1, 0
	v_add_u32_e32 v65, s48, v41
	s_branch .LBB8_18
.LBB8_16:                               ;   in Loop: Header=BB8_18 Depth=3
	v_pk_mov_b32 v[54:55], v[56:57], v[56:57] op_sel:[0,1]
	v_pk_mov_b32 v[52:53], v[24:25], v[24:25] op_sel:[0,1]
.LBB8_17:                               ;   in Loop: Header=BB8_18 Depth=3
	s_add_i32 s58, s58, 32
	s_cmp_ge_i32 s58, s23
	s_waitcnt lgkmcnt(0)
	s_barrier
	s_cbranch_scc1 .LBB8_14
.LBB8_18:                               ;   Parent Loop BB8_12 Depth=1
                                        ;     Parent Loop BB8_15 Depth=2
                                        ; =>    This Inner Loop Header: Depth=3
	v_add_u32_e32 v0, s58, v41
	v_cmp_gt_i32_e32 vcc, s23, v0
	s_and_b64 s[48:49], s[4:5], vcc
	s_and_b64 s[52:53], s[48:49], s[46:47]
	s_and_b64 vcc, exec, s[44:45]
	s_cbranch_vccz .LBB8_22
; %bb.19:                               ;   in Loop: Header=BB8_18 Depth=3
	s_mov_b64 s[50:51], 0
	s_mov_b64 s[48:49], 0
                                        ; implicit-def: $vgpr4_vgpr5
	s_and_saveexec_b64 s[54:55], s[52:53]
	s_xor_b64 s[54:55], exec, s[54:55]
; %bb.20:                               ;   in Loop: Header=BB8_18 Depth=3
	v_add_u32_e32 v3, s58, v65
	v_mad_u64_u32 v[0:1], s[60:61], v3, s18, 0
	v_mov_b32_e32 v2, v1
	v_mad_u64_u32 v[2:3], s[60:61], v3, s19, v[2:3]
	v_mov_b32_e32 v1, v2
	v_lshlrev_b64 v[0:1], 4, v[0:1]
	v_add_co_u32_e32 v4, vcc, v51, v0
	s_mov_b64 s[48:49], exec
	v_addc_co_u32_e32 v5, vcc, v58, v1, vcc
; %bb.21:                               ;   in Loop: Header=BB8_18 Depth=3
	s_or_b64 exec, exec, s[54:55]
	s_and_b64 vcc, exec, s[50:51]
	s_cbranch_vccnz .LBB8_23
	s_branch .LBB8_26
.LBB8_22:                               ;   in Loop: Header=BB8_18 Depth=3
	s_mov_b64 s[50:51], -1
	s_mov_b64 s[48:49], 0
                                        ; implicit-def: $vgpr4_vgpr5
	s_cbranch_execz .LBB8_26
.LBB8_23:                               ;   in Loop: Header=BB8_18 Depth=3
                                        ; implicit-def: $vgpr4_vgpr5
	s_and_saveexec_b64 s[50:51], s[52:53]
; %bb.24:                               ;   in Loop: Header=BB8_18 Depth=3
	v_add_u32_e32 v48, s58, v65
	v_lshlrev_b64 v[0:1], 4, v[48:49]
	v_add_co_u32_e32 v4, vcc, v61, v0
	v_addc_co_u32_e32 v5, vcc, v62, v1, vcc
	s_or_b64 s[48:49], s[48:49], exec
; %bb.25:                               ;   in Loop: Header=BB8_18 Depth=3
	s_or_b64 exec, exec, s[50:51]
	s_mov_b64 s[50:51], 0
.LBB8_26:                               ;   in Loop: Header=BB8_18 Depth=3
	v_pk_mov_b32 v[0:1], s[50:51], s[50:51] op_sel:[0,1]
	v_pk_mov_b32 v[2:3], s[50:51], s[50:51] op_sel:[0,1]
	s_and_saveexec_b64 s[50:51], s[48:49]
	s_cbranch_execz .LBB8_28
; %bb.27:                               ;   in Loop: Header=BB8_18 Depth=3
	global_load_dwordx4 v[0:3], v[4:5], off
.LBB8_28:                               ;   in Loop: Header=BB8_18 Depth=3
	s_or_b64 exec, exec, s[50:51]
	v_add_u32_e32 v5, s58, v40
	v_cmp_gt_i32_e32 vcc, s23, v5
	s_and_b64 s[48:49], s[10:11], vcc
	s_and_b64 s[50:51], s[48:49], s[46:47]
	s_and_b64 vcc, exec, s[16:17]
	s_waitcnt vmcnt(0)
	ds_write_b128 v60, v[0:3]
	s_cbranch_vccz .LBB8_39
; %bb.29:                               ;   in Loop: Header=BB8_18 Depth=3
	s_mov_b64 s[52:53], 0
	s_mov_b64 s[48:49], 0
                                        ; implicit-def: $vgpr4
	s_and_saveexec_b64 s[54:55], s[50:51]
	s_xor_b64 s[54:55], exec, s[54:55]
; %bb.30:                               ;   in Loop: Header=BB8_18 Depth=3
	v_add_u32_e32 v0, s57, v5
	s_mov_b64 s[48:49], exec
	v_mad_u64_u32 v[4:5], s[60:61], v0, s23, v[50:51]
; %bb.31:                               ;   in Loop: Header=BB8_18 Depth=3
	s_or_b64 exec, exec, s[54:55]
	s_and_b64 vcc, exec, s[52:53]
	s_cbranch_vccnz .LBB8_40
.LBB8_32:                               ;   in Loop: Header=BB8_18 Depth=3
	v_pk_mov_b32 v[0:1], s[52:53], s[52:53] op_sel:[0,1]
	v_pk_mov_b32 v[2:3], s[52:53], s[52:53] op_sel:[0,1]
	s_and_saveexec_b64 s[50:51], s[48:49]
	s_cbranch_execz .LBB8_34
.LBB8_33:                               ;   in Loop: Header=BB8_18 Depth=3
	v_ashrrev_i32_e32 v5, 31, v4
	v_lshlrev_b64 v[0:1], 4, v[4:5]
	v_mov_b32_e32 v2, s15
	v_add_co_u32_e32 v0, vcc, s14, v0
	v_addc_co_u32_e32 v1, vcc, v2, v1, vcc
	global_load_dwordx4 v[0:3], v[0:1], off
.LBB8_34:                               ;   in Loop: Header=BB8_18 Depth=3
	s_or_b64 exec, exec, s[50:51]
	s_andn2_b64 vcc, exec, s[46:47]
	s_waitcnt vmcnt(0)
	ds_write_b128 v59, v[0:3]
	s_waitcnt lgkmcnt(0)
	s_barrier
	s_cbranch_vccnz .LBB8_17
; %bb.35:                               ;   in Loop: Header=BB8_18 Depth=3
	s_and_b64 vcc, exec, s[24:25]
	s_cbranch_vccz .LBB8_43
; %bb.36:                               ;   in Loop: Header=BB8_18 Depth=3
	s_and_b64 vcc, exec, s[34:35]
	s_cbranch_vccz .LBB8_44
; %bb.37:                               ;   in Loop: Header=BB8_18 Depth=3
	ds_read_b128 v[0:3], v63
	ds_read_b128 v[4:7], v63 offset:512
	ds_read_b128 v[8:11], v63 offset:1024
	s_andn2_b64 vcc, exec, s[36:37]
	s_cbranch_vccnz .LBB8_45
; %bb.38:                               ;   in Loop: Header=BB8_18 Depth=3
	ds_read_b128 v[24:27], v64
	ds_read_b128 v[20:23], v64 offset:16
	ds_read_b128 v[16:19], v64 offset:32
	;; [unrolled: 1-line block ×4, first 2 shown]
	s_waitcnt lgkmcnt(4)
	v_fma_f64 v[56:57], v[0:1], v[24:25], v[54:55]
	v_fma_f64 v[24:25], v[2:3], v[24:25], v[52:53]
	v_fma_f64 v[56:57], -v[2:3], v[26:27], v[56:57]
	v_fmac_f64_e32 v[24:25], v[0:1], v[26:27]
	s_waitcnt lgkmcnt(3)
	v_fmac_f64_e32 v[56:57], v[4:5], v[20:21]
	v_fmac_f64_e32 v[24:25], v[6:7], v[20:21]
	v_fma_f64 v[26:27], -v[6:7], v[22:23], v[56:57]
	v_fmac_f64_e32 v[24:25], v[4:5], v[22:23]
	ds_read_b128 v[20:23], v63 offset:1536
	s_waitcnt lgkmcnt(3)
	v_fmac_f64_e32 v[26:27], v[8:9], v[16:17]
	v_fmac_f64_e32 v[24:25], v[10:11], v[16:17]
	v_fma_f64 v[26:27], -v[10:11], v[18:19], v[26:27]
	v_fmac_f64_e32 v[24:25], v[8:9], v[18:19]
	ds_read_b128 v[16:19], v63 offset:2048
	ds_read_b128 v[66:69], v64 offset:64
	s_waitcnt lgkmcnt(2)
	v_fmac_f64_e32 v[26:27], v[20:21], v[12:13]
	v_fmac_f64_e32 v[24:25], v[22:23], v[12:13]
	v_fma_f64 v[26:27], -v[22:23], v[14:15], v[26:27]
	v_fmac_f64_e32 v[24:25], v[20:21], v[14:15]
	ds_read_b128 v[12:15], v64 offset:80
	;; [unrolled: 7-line block ×28, first 2 shown]
	s_waitcnt lgkmcnt(1)
	v_fmac_f64_e32 v[26:27], v[16:17], v[66:67]
	v_fmac_f64_e32 v[24:25], v[18:19], v[66:67]
	v_fma_f64 v[20:21], -v[18:19], v[68:69], v[26:27]
	v_fmac_f64_e32 v[24:25], v[16:17], v[68:69]
	s_waitcnt lgkmcnt(0)
	v_fmac_f64_e32 v[20:21], v[28:29], v[12:13]
	v_fmac_f64_e32 v[24:25], v[30:31], v[12:13]
	v_fma_f64 v[56:57], -v[30:31], v[14:15], v[20:21]
	v_fmac_f64_e32 v[24:25], v[28:29], v[14:15]
	s_cbranch_execz .LBB8_46
	s_branch .LBB8_47
.LBB8_39:                               ;   in Loop: Header=BB8_18 Depth=3
	s_mov_b64 s[52:53], -1
	s_mov_b64 s[48:49], 0
                                        ; implicit-def: $vgpr4
	s_cbranch_execz .LBB8_32
.LBB8_40:                               ;   in Loop: Header=BB8_18 Depth=3
                                        ; implicit-def: $vgpr4
	s_and_saveexec_b64 s[52:53], s[50:51]
; %bb.41:                               ;   in Loop: Header=BB8_18 Depth=3
	v_add_u32_e32 v4, s58, v47
	s_or_b64 s[48:49], s[48:49], exec
; %bb.42:                               ;   in Loop: Header=BB8_18 Depth=3
	s_or_b64 exec, exec, s[52:53]
	s_mov_b64 s[52:53], 0
	v_pk_mov_b32 v[0:1], s[52:53], s[52:53] op_sel:[0,1]
	v_pk_mov_b32 v[2:3], s[52:53], s[52:53] op_sel:[0,1]
	s_and_saveexec_b64 s[50:51], s[48:49]
	s_cbranch_execnz .LBB8_33
	s_branch .LBB8_34
.LBB8_43:                               ;   in Loop: Header=BB8_18 Depth=3
                                        ; implicit-def: $vgpr24_vgpr25
                                        ; implicit-def: $vgpr56_vgpr57
	s_branch .LBB8_50
.LBB8_44:                               ;   in Loop: Header=BB8_18 Depth=3
                                        ; implicit-def: $vgpr24_vgpr25
                                        ; implicit-def: $vgpr56_vgpr57
	s_branch .LBB8_48
.LBB8_45:                               ;   in Loop: Header=BB8_18 Depth=3
                                        ; implicit-def: $vgpr24_vgpr25
                                        ; implicit-def: $vgpr56_vgpr57
.LBB8_46:                               ;   in Loop: Header=BB8_18 Depth=3
	ds_read_b128 v[24:27], v64
	ds_read_b128 v[20:23], v64 offset:16
	ds_read_b128 v[16:19], v64 offset:32
	;; [unrolled: 1-line block ×4, first 2 shown]
	s_waitcnt lgkmcnt(4)
	v_fma_f64 v[56:57], v[0:1], v[24:25], v[54:55]
	v_fmac_f64_e32 v[56:57], v[2:3], v[26:27]
	v_fma_f64 v[2:3], -v[2:3], v[24:25], v[52:53]
	v_fmac_f64_e32 v[2:3], v[0:1], v[26:27]
	s_waitcnt lgkmcnt(3)
	v_fmac_f64_e32 v[56:57], v[4:5], v[20:21]
	v_fmac_f64_e32 v[56:57], v[6:7], v[22:23]
	v_fma_f64 v[6:7], -v[6:7], v[20:21], v[2:3]
	ds_read_b128 v[0:3], v63 offset:1536
	v_fmac_f64_e32 v[6:7], v[4:5], v[22:23]
	s_waitcnt lgkmcnt(3)
	v_fmac_f64_e32 v[56:57], v[8:9], v[16:17]
	v_fma_f64 v[16:17], -v[10:11], v[16:17], v[6:7]
	v_fmac_f64_e32 v[56:57], v[10:11], v[18:19]
	v_fmac_f64_e32 v[16:17], v[8:9], v[18:19]
	ds_read_b128 v[4:7], v63 offset:2048
	ds_read_b128 v[8:11], v64 offset:64
	s_waitcnt lgkmcnt(2)
	v_fmac_f64_e32 v[56:57], v[0:1], v[12:13]
	v_fma_f64 v[16:17], -v[2:3], v[12:13], v[16:17]
	v_fmac_f64_e32 v[56:57], v[2:3], v[14:15]
	v_fmac_f64_e32 v[16:17], v[0:1], v[14:15]
	ds_read_b128 v[0:3], v64 offset:80
	ds_read_b128 v[12:15], v63 offset:2560
	;; [unrolled: 7-line block ×27, first 2 shown]
	s_waitcnt lgkmcnt(2)
	v_fmac_f64_e32 v[56:57], v[12:13], v[0:1]
	v_fmac_f64_e32 v[56:57], v[14:15], v[2:3]
	v_fma_f64 v[14:15], -v[14:15], v[0:1], v[16:17]
	v_fmac_f64_e32 v[14:15], v[12:13], v[2:3]
	ds_read_b128 v[0:3], v64 offset:496
	s_waitcnt lgkmcnt(1)
	v_fmac_f64_e32 v[56:57], v[4:5], v[8:9]
	v_fmac_f64_e32 v[56:57], v[6:7], v[10:11]
	v_fma_f64 v[6:7], -v[6:7], v[8:9], v[14:15]
	v_fmac_f64_e32 v[6:7], v[4:5], v[10:11]
	s_waitcnt lgkmcnt(0)
	v_fmac_f64_e32 v[56:57], v[28:29], v[0:1]
	v_fma_f64 v[24:25], -v[30:31], v[0:1], v[6:7]
	v_fmac_f64_e32 v[56:57], v[30:31], v[2:3]
	v_fmac_f64_e32 v[24:25], v[28:29], v[2:3]
.LBB8_47:                               ;   in Loop: Header=BB8_18 Depth=3
	s_cbranch_execnz .LBB8_49
.LBB8_48:                               ;   in Loop: Header=BB8_18 Depth=3
	s_waitcnt lgkmcnt(2)
	ds_read_b128 v[0:3], v63
	s_waitcnt lgkmcnt(2)
	ds_read_b128 v[4:7], v64
	s_waitcnt lgkmcnt(2)
	ds_read_b128 v[8:11], v64 offset:16
	ds_read_b128 v[12:15], v64 offset:32
	;; [unrolled: 1-line block ×4, first 2 shown]
	s_waitcnt lgkmcnt(4)
	v_fma_f64 v[56:57], v[0:1], v[4:5], v[54:55]
	v_fmac_f64_e32 v[56:57], v[2:3], v[6:7]
	v_fma_f64 v[2:3], v[2:3], v[4:5], v[52:53]
	v_fma_f64 v[4:5], v[0:1], -v[6:7], v[2:3]
	ds_read_b128 v[0:3], v63 offset:1024
	s_waitcnt lgkmcnt(1)
	v_fmac_f64_e32 v[4:5], v[22:23], v[8:9]
	v_fmac_f64_e32 v[56:57], v[20:21], v[8:9]
	v_fma_f64 v[8:9], v[20:21], -v[10:11], v[4:5]
	ds_read_b128 v[4:7], v63 offset:1536
	v_fmac_f64_e32 v[56:57], v[22:23], v[10:11]
	s_waitcnt lgkmcnt(1)
	v_fmac_f64_e32 v[56:57], v[0:1], v[12:13]
	v_fmac_f64_e32 v[8:9], v[2:3], v[12:13]
	v_fmac_f64_e32 v[56:57], v[2:3], v[14:15]
	v_fma_f64 v[12:13], v[0:1], -v[14:15], v[8:9]
	ds_read_b128 v[0:3], v64 offset:64
	ds_read_b128 v[8:11], v63 offset:2048
	s_waitcnt lgkmcnt(2)
	v_fmac_f64_e32 v[56:57], v[4:5], v[16:17]
	v_fmac_f64_e32 v[12:13], v[6:7], v[16:17]
	v_fmac_f64_e32 v[56:57], v[6:7], v[18:19]
	v_fma_f64 v[16:17], v[4:5], -v[18:19], v[12:13]
	ds_read_b128 v[4:7], v63 offset:2560
	ds_read_b128 v[12:15], v64 offset:80
	;; [unrolled: 7-line block ×28, first 2 shown]
	s_waitcnt lgkmcnt(2)
	v_fmac_f64_e32 v[56:57], v[8:9], v[0:1]
	v_fmac_f64_e32 v[16:17], v[10:11], v[0:1]
	;; [unrolled: 1-line block ×3, first 2 shown]
	v_fma_f64 v[0:1], v[8:9], -v[2:3], v[16:17]
	s_waitcnt lgkmcnt(0)
	v_fmac_f64_e32 v[56:57], v[4:5], v[12:13]
	v_fmac_f64_e32 v[0:1], v[6:7], v[12:13]
	;; [unrolled: 1-line block ×3, first 2 shown]
	v_fma_f64 v[24:25], v[4:5], -v[14:15], v[0:1]
.LBB8_49:                               ;   in Loop: Header=BB8_18 Depth=3
	s_cbranch_execnz .LBB8_16
.LBB8_50:                               ;   in Loop: Header=BB8_18 Depth=3
	s_waitcnt lgkmcnt(2)
	ds_read_b128 v[0:3], v63
	s_waitcnt lgkmcnt(2)
	ds_read_b128 v[4:7], v64
	s_waitcnt lgkmcnt(2)
	ds_read_b128 v[8:11], v64 offset:16
	ds_read_b128 v[12:15], v64 offset:32
	;; [unrolled: 1-line block ×4, first 2 shown]
	s_waitcnt lgkmcnt(4)
	v_fmac_f64_e32 v[54:55], v[0:1], v[4:5]
	v_fma_f64 v[24:25], v[2:3], -v[6:7], v[54:55]
	v_fma_f64 v[2:3], -v[2:3], v[4:5], v[52:53]
	v_fma_f64 v[4:5], v[0:1], -v[6:7], v[2:3]
	ds_read_b128 v[0:3], v63 offset:1024
	s_waitcnt lgkmcnt(1)
	v_fma_f64 v[4:5], -v[22:23], v[8:9], v[4:5]
	v_fmac_f64_e32 v[24:25], v[20:21], v[8:9]
	v_fma_f64 v[8:9], v[20:21], -v[10:11], v[4:5]
	ds_read_b128 v[4:7], v63 offset:1536
	v_fma_f64 v[24:25], v[22:23], -v[10:11], v[24:25]
	s_waitcnt lgkmcnt(1)
	v_fmac_f64_e32 v[24:25], v[0:1], v[12:13]
	v_fma_f64 v[10:11], v[2:3], -v[14:15], v[24:25]
	v_fma_f64 v[2:3], -v[2:3], v[12:13], v[8:9]
	s_waitcnt lgkmcnt(0)
	v_fmac_f64_e32 v[10:11], v[4:5], v[16:17]
	v_fma_f64 v[12:13], v[0:1], -v[14:15], v[2:3]
	v_fma_f64 v[20:21], v[6:7], -v[18:19], v[10:11]
	ds_read_b128 v[0:3], v64 offset:64
	ds_read_b128 v[8:11], v63 offset:2048
	v_fma_f64 v[6:7], -v[6:7], v[16:17], v[12:13]
	v_fma_f64 v[16:17], v[4:5], -v[18:19], v[6:7]
	ds_read_b128 v[4:7], v63 offset:2560
	ds_read_b128 v[12:15], v64 offset:80
	s_waitcnt lgkmcnt(2)
	v_fmac_f64_e32 v[20:21], v[8:9], v[0:1]
	v_fma_f64 v[18:19], v[10:11], -v[2:3], v[20:21]
	v_fma_f64 v[0:1], -v[10:11], v[0:1], v[16:17]
	v_fma_f64 v[16:17], v[8:9], -v[2:3], v[0:1]
	s_waitcnt lgkmcnt(0)
	v_fmac_f64_e32 v[18:19], v[4:5], v[12:13]
	ds_read_b128 v[0:3], v64 offset:96
	ds_read_b128 v[8:11], v63 offset:3072
	v_fma_f64 v[18:19], v[6:7], -v[14:15], v[18:19]
	v_fma_f64 v[6:7], -v[6:7], v[12:13], v[16:17]
	v_fma_f64 v[16:17], v[4:5], -v[14:15], v[6:7]
	ds_read_b128 v[4:7], v63 offset:3584
	ds_read_b128 v[12:15], v64 offset:112
	s_waitcnt lgkmcnt(2)
	v_fmac_f64_e32 v[18:19], v[8:9], v[0:1]
	v_fma_f64 v[18:19], v[10:11], -v[2:3], v[18:19]
	v_fma_f64 v[0:1], -v[10:11], v[0:1], v[16:17]
	v_fma_f64 v[16:17], v[8:9], -v[2:3], v[0:1]
	s_waitcnt lgkmcnt(0)
	v_fmac_f64_e32 v[18:19], v[4:5], v[12:13]
	ds_read_b128 v[0:3], v64 offset:128
	ds_read_b128 v[8:11], v63 offset:4096
	v_fma_f64 v[18:19], v[6:7], -v[14:15], v[18:19]
	;; [unrolled: 14-line block ×13, first 2 shown]
	v_fma_f64 v[6:7], -v[6:7], v[12:13], v[16:17]
	v_fma_f64 v[16:17], v[4:5], -v[14:15], v[6:7]
	ds_read_b128 v[4:7], v63 offset:15872
	ds_read_b128 v[12:15], v64 offset:496
	s_waitcnt lgkmcnt(2)
	v_fmac_f64_e32 v[18:19], v[8:9], v[0:1]
	v_fma_f64 v[0:1], -v[10:11], v[0:1], v[16:17]
	v_fma_f64 v[18:19], v[10:11], -v[2:3], v[18:19]
	v_fma_f64 v[0:1], v[8:9], -v[2:3], v[0:1]
	s_waitcnt lgkmcnt(0)
	v_fmac_f64_e32 v[18:19], v[4:5], v[12:13]
	v_fma_f64 v[0:1], -v[6:7], v[12:13], v[0:1]
	v_fma_f64 v[56:57], v[6:7], -v[14:15], v[18:19]
	v_fma_f64 v[24:25], v[4:5], -v[14:15], v[0:1]
	s_branch .LBB8_16
.LBB8_51:                               ;   in Loop: Header=BB8_12 Depth=1
	v_add_u32_e32 v2, s9, v50
	v_ashrrev_i32_e32 v3, 31, v2
	s_and_b64 vcc, exec, s[38:39]
	s_cbranch_vccz .LBB8_53
; %bb.52:                               ;   in Loop: Header=BB8_12 Depth=1
	v_mad_u64_u32 v[0:1], s[10:11], v2, s30, v[42:43]
	v_mul_lo_u32 v4, v2, s31
	v_mul_lo_u32 v5, v3, s30
	v_add3_u32 v1, v5, v1, v4
	s_cbranch_execz .LBB8_54
	s_branch .LBB8_55
.LBB8_53:                               ;   in Loop: Header=BB8_12 Depth=1
                                        ; implicit-def: $vgpr0_vgpr1
.LBB8_54:                               ;   in Loop: Header=BB8_12 Depth=1
	v_add_co_u32_e32 v0, vcc, v44, v2
	v_addc_co_u32_e32 v1, vcc, v45, v3, vcc
.LBB8_55:                               ;   in Loop: Header=BB8_12 Depth=1
	v_cmp_gt_i32_e32 vcc, s23, v50
	s_and_b64 s[46:47], s[40:41], vcc
	s_and_saveexec_b64 s[10:11], s[46:47]
	s_cbranch_execz .LBB8_11
; %bb.56:                               ;   in Loop: Header=BB8_12 Depth=1
	v_lshlrev_b64 v[4:5], 4, v[0:1]
	v_mul_f64 v[0:1], v[52:53], -v[34:35]
	v_mul_f64 v[2:3], v[32:33], v[52:53]
	v_fmac_f64_e32 v[0:1], v[32:33], v[54:55]
	v_fmac_f64_e32 v[2:3], v[34:35], v[54:55]
	s_and_saveexec_b64 s[46:47], s[42:43]
	s_xor_b64 s[46:47], exec, s[46:47]
	s_cbranch_execz .LBB8_58
; %bb.57:                               ;   in Loop: Header=BB8_12 Depth=1
	v_mov_b32_e32 v6, s29
	v_add_co_u32_e32 v8, vcc, s28, v4
	v_addc_co_u32_e32 v9, vcc, v6, v5, vcc
	global_load_dwordx4 v[4:7], v[8:9], off
	s_waitcnt vmcnt(0)
	v_fmac_f64_e32 v[0:1], v[36:37], v[4:5]
	v_fmac_f64_e32 v[2:3], v[38:39], v[4:5]
	v_fma_f64 v[0:1], -v[38:39], v[6:7], v[0:1]
	v_fmac_f64_e32 v[2:3], v[36:37], v[6:7]
	global_store_dwordx4 v[8:9], v[0:3], off
                                        ; implicit-def: $vgpr0_vgpr1
                                        ; implicit-def: $vgpr4_vgpr5
.LBB8_58:                               ;   in Loop: Header=BB8_12 Depth=1
	s_andn2_saveexec_b64 s[46:47], s[46:47]
	s_cbranch_execz .LBB8_11
; %bb.59:                               ;   in Loop: Header=BB8_12 Depth=1
	v_mov_b32_e32 v6, s29
	v_add_co_u32_e32 v4, vcc, s28, v4
	v_addc_co_u32_e32 v5, vcc, v6, v5, vcc
	global_store_dwordx4 v[4:5], v[0:3], off
	s_branch .LBB8_11
.LBB8_60:
	s_endpgm
	.section	.rodata,"a",@progbits
	.p2align	6, 0x0
	.amdhsa_kernel _ZN9rocsparseL30bellmm_general_blockdim_kernelILi32ELi32E21rocsparse_complex_numIdEiS2_S2_S2_EEv20rocsparse_operation_S3_20rocsparse_direction_T2_S5_NS_24const_host_device_scalarIT1_EES5_S5_PKS5_PKT3_PKT4_l16rocsparse_order_S8_PT5_lSH_21rocsparse_index_base_b
		.amdhsa_group_segment_fixed_size 32768
		.amdhsa_private_segment_fixed_size 24
		.amdhsa_kernarg_size 132
		.amdhsa_user_sgpr_count 8
		.amdhsa_user_sgpr_private_segment_buffer 1
		.amdhsa_user_sgpr_dispatch_ptr 0
		.amdhsa_user_sgpr_queue_ptr 0
		.amdhsa_user_sgpr_kernarg_segment_ptr 1
		.amdhsa_user_sgpr_dispatch_id 0
		.amdhsa_user_sgpr_flat_scratch_init 1
		.amdhsa_user_sgpr_kernarg_preload_length 0
		.amdhsa_user_sgpr_kernarg_preload_offset 0
		.amdhsa_user_sgpr_private_segment_size 0
		.amdhsa_uses_dynamic_stack 0
		.amdhsa_system_sgpr_private_segment_wavefront_offset 1
		.amdhsa_system_sgpr_workgroup_id_x 1
		.amdhsa_system_sgpr_workgroup_id_y 1
		.amdhsa_system_sgpr_workgroup_id_z 0
		.amdhsa_system_sgpr_workgroup_info 0
		.amdhsa_system_vgpr_workitem_id 1
		.amdhsa_next_free_vgpr 70
		.amdhsa_next_free_sgpr 62
		.amdhsa_accum_offset 72
		.amdhsa_reserve_vcc 1
		.amdhsa_reserve_flat_scratch 1
		.amdhsa_float_round_mode_32 0
		.amdhsa_float_round_mode_16_64 0
		.amdhsa_float_denorm_mode_32 3
		.amdhsa_float_denorm_mode_16_64 3
		.amdhsa_dx10_clamp 1
		.amdhsa_ieee_mode 1
		.amdhsa_fp16_overflow 0
		.amdhsa_tg_split 0
		.amdhsa_exception_fp_ieee_invalid_op 0
		.amdhsa_exception_fp_denorm_src 0
		.amdhsa_exception_fp_ieee_div_zero 0
		.amdhsa_exception_fp_ieee_overflow 0
		.amdhsa_exception_fp_ieee_underflow 0
		.amdhsa_exception_fp_ieee_inexact 0
		.amdhsa_exception_int_div_zero 0
	.end_amdhsa_kernel
	.section	.text._ZN9rocsparseL30bellmm_general_blockdim_kernelILi32ELi32E21rocsparse_complex_numIdEiS2_S2_S2_EEv20rocsparse_operation_S3_20rocsparse_direction_T2_S5_NS_24const_host_device_scalarIT1_EES5_S5_PKS5_PKT3_PKT4_l16rocsparse_order_S8_PT5_lSH_21rocsparse_index_base_b,"axG",@progbits,_ZN9rocsparseL30bellmm_general_blockdim_kernelILi32ELi32E21rocsparse_complex_numIdEiS2_S2_S2_EEv20rocsparse_operation_S3_20rocsparse_direction_T2_S5_NS_24const_host_device_scalarIT1_EES5_S5_PKS5_PKT3_PKT4_l16rocsparse_order_S8_PT5_lSH_21rocsparse_index_base_b,comdat
.Lfunc_end8:
	.size	_ZN9rocsparseL30bellmm_general_blockdim_kernelILi32ELi32E21rocsparse_complex_numIdEiS2_S2_S2_EEv20rocsparse_operation_S3_20rocsparse_direction_T2_S5_NS_24const_host_device_scalarIT1_EES5_S5_PKS5_PKT3_PKT4_l16rocsparse_order_S8_PT5_lSH_21rocsparse_index_base_b, .Lfunc_end8-_ZN9rocsparseL30bellmm_general_blockdim_kernelILi32ELi32E21rocsparse_complex_numIdEiS2_S2_S2_EEv20rocsparse_operation_S3_20rocsparse_direction_T2_S5_NS_24const_host_device_scalarIT1_EES5_S5_PKS5_PKT3_PKT4_l16rocsparse_order_S8_PT5_lSH_21rocsparse_index_base_b
                                        ; -- End function
	.section	.AMDGPU.csdata,"",@progbits
; Kernel info:
; codeLenInByte = 7108
; NumSgprs: 68
; NumVgprs: 70
; NumAgprs: 0
; TotalNumVgprs: 70
; ScratchSize: 24
; MemoryBound: 1
; FloatMode: 240
; IeeeMode: 1
; LDSByteSize: 32768 bytes/workgroup (compile time only)
; SGPRBlocks: 8
; VGPRBlocks: 8
; NumSGPRsForWavesPerEU: 68
; NumVGPRsForWavesPerEU: 70
; AccumOffset: 72
; Occupancy: 7
; WaveLimiterHint : 1
; COMPUTE_PGM_RSRC2:SCRATCH_EN: 1
; COMPUTE_PGM_RSRC2:USER_SGPR: 8
; COMPUTE_PGM_RSRC2:TRAP_HANDLER: 0
; COMPUTE_PGM_RSRC2:TGID_X_EN: 1
; COMPUTE_PGM_RSRC2:TGID_Y_EN: 1
; COMPUTE_PGM_RSRC2:TGID_Z_EN: 0
; COMPUTE_PGM_RSRC2:TIDIG_COMP_CNT: 1
; COMPUTE_PGM_RSRC3_GFX90A:ACCUM_OFFSET: 17
; COMPUTE_PGM_RSRC3_GFX90A:TG_SPLIT: 0
	.section	.text._ZN9rocsparseL30bellmm_general_blockdim_kernelILi32ELi32E21rocsparse_complex_numIdElS2_S2_S2_EEv20rocsparse_operation_S3_20rocsparse_direction_T2_S5_NS_24const_host_device_scalarIT1_EES5_S5_PKS5_PKT3_PKT4_l16rocsparse_order_S8_PT5_lSH_21rocsparse_index_base_b,"axG",@progbits,_ZN9rocsparseL30bellmm_general_blockdim_kernelILi32ELi32E21rocsparse_complex_numIdElS2_S2_S2_EEv20rocsparse_operation_S3_20rocsparse_direction_T2_S5_NS_24const_host_device_scalarIT1_EES5_S5_PKS5_PKT3_PKT4_l16rocsparse_order_S8_PT5_lSH_21rocsparse_index_base_b,comdat
	.globl	_ZN9rocsparseL30bellmm_general_blockdim_kernelILi32ELi32E21rocsparse_complex_numIdElS2_S2_S2_EEv20rocsparse_operation_S3_20rocsparse_direction_T2_S5_NS_24const_host_device_scalarIT1_EES5_S5_PKS5_PKT3_PKT4_l16rocsparse_order_S8_PT5_lSH_21rocsparse_index_base_b ; -- Begin function _ZN9rocsparseL30bellmm_general_blockdim_kernelILi32ELi32E21rocsparse_complex_numIdElS2_S2_S2_EEv20rocsparse_operation_S3_20rocsparse_direction_T2_S5_NS_24const_host_device_scalarIT1_EES5_S5_PKS5_PKT3_PKT4_l16rocsparse_order_S8_PT5_lSH_21rocsparse_index_base_b
	.p2align	8
	.type	_ZN9rocsparseL30bellmm_general_blockdim_kernelILi32ELi32E21rocsparse_complex_numIdElS2_S2_S2_EEv20rocsparse_operation_S3_20rocsparse_direction_T2_S5_NS_24const_host_device_scalarIT1_EES5_S5_PKS5_PKT3_PKT4_l16rocsparse_order_S8_PT5_lSH_21rocsparse_index_base_b,@function
_ZN9rocsparseL30bellmm_general_blockdim_kernelILi32ELi32E21rocsparse_complex_numIdElS2_S2_S2_EEv20rocsparse_operation_S3_20rocsparse_direction_T2_S5_NS_24const_host_device_scalarIT1_EES5_S5_PKS5_PKT3_PKT4_l16rocsparse_order_S8_PT5_lSH_21rocsparse_index_base_b: ; @_ZN9rocsparseL30bellmm_general_blockdim_kernelILi32ELi32E21rocsparse_complex_numIdElS2_S2_S2_EEv20rocsparse_operation_S3_20rocsparse_direction_T2_S5_NS_24const_host_device_scalarIT1_EES5_S5_PKS5_PKT3_PKT4_l16rocsparse_order_S8_PT5_lSH_21rocsparse_index_base_b
; %bb.0:
	s_add_u32 flat_scratch_lo, s6, s10
	s_addc_u32 flat_scratch_hi, s7, 0
	s_load_dwordx4 s[36:39], s[4:5], 0x88
	s_load_dwordx8 s[16:23], s[4:5], 0x10
	s_load_dwordx4 s[12:15], s[4:5], 0x68
	s_add_u32 s0, s0, s10
	s_addc_u32 s1, s1, 0
	s_waitcnt lgkmcnt(0)
	s_bitcmp1_b32 s38, 0
	v_mov_b32_e32 v1, 0
	v_mov_b32_e32 v3, s20
	s_cselect_b64 s[6:7], -1, 0
	v_cndmask_b32_e64 v2, v3, v1, s[6:7]
	v_mov_b32_e32 v1, s21
	s_mov_b64 s[24:25], src_private_base
	s_and_b64 vcc, s[6:7], exec
	buffer_store_dword v1, off, s[0:3], 0 offset:4
	buffer_store_dword v3, off, s[0:3], 0
	v_mov_b32_e32 v1, s13
	s_mov_b32 s10, s9
	s_cselect_b32 s9, s25, s21
	buffer_store_dword v1, off, s[0:3], 0 offset:12
	v_mov_b32_e32 v1, s12
	buffer_store_dword v1, off, s[0:3], 0 offset:8
	v_mov_b32_e32 v3, s9
	flat_load_dwordx2 v[32:33], v[2:3]
	s_xor_b64 s[26:27], s[6:7], -1
	v_pk_mov_b32 v[34:35], s[22:23], s[22:23] op_sel:[0,1]
	s_cbranch_vccnz .LBB9_2
; %bb.1:
	v_pk_mov_b32 v[2:3], s[20:21], s[20:21] op_sel:[0,1]
	flat_load_dwordx2 v[34:35], v[2:3] offset:8
.LBB9_2:
	s_and_b64 s[20:21], s[6:7], exec
	s_cselect_b32 s9, s25, s13
	v_mov_b32_e32 v1, 8
	v_mov_b32_e32 v2, s12
	v_cndmask_b32_e64 v2, v2, v1, s[6:7]
	v_mov_b32_e32 v3, s9
	flat_load_dwordx2 v[36:37], v[2:3]
	s_andn2_b64 vcc, exec, s[26:27]
	v_pk_mov_b32 v[38:39], s[14:15], s[14:15] op_sel:[0,1]
	s_cbranch_vccnz .LBB9_4
; %bb.3:
	v_pk_mov_b32 v[2:3], s[12:13], s[12:13] op_sel:[0,1]
	flat_load_dwordx2 v[38:39], v[2:3] offset:8
.LBB9_4:
	s_waitcnt vmcnt(0) lgkmcnt(0)
	v_cmp_eq_f64_e32 vcc, 0, v[32:33]
	v_cmp_eq_f64_e64 s[6:7], 0, v[34:35]
	s_and_b64 s[14:15], vcc, s[6:7]
	s_mov_b64 s[6:7], -1
	s_and_saveexec_b64 s[12:13], s[14:15]
; %bb.5:
	v_cmp_neq_f64_e32 vcc, 1.0, v[36:37]
	v_cmp_neq_f64_e64 s[6:7], 0, v[38:39]
	s_or_b64 s[6:7], vcc, s[6:7]
	s_orn2_b64 s[6:7], s[6:7], exec
; %bb.6:
	s_or_b64 exec, exec, s[12:13]
	s_and_saveexec_b64 s[12:13], s[6:7]
	s_cbranch_execz .LBB9_58
; %bb.7:
	s_load_dwordx4 s[28:31], s[4:5], 0x30
	s_mov_b32 s9, 0
	v_pk_mov_b32 v[2:3], s[16:17], s[16:17] op_sel:[0,1]
	v_cmp_ge_i64_e32 vcc, s[8:9], v[2:3]
	v_cmp_lt_i64_e64 s[6:7], s[8:9], v[2:3]
	s_mov_b64 s[34:35], 0
	s_cbranch_vccnz .LBB9_11
; %bb.8:
	s_waitcnt lgkmcnt(0)
	s_or_b64 s[12:13], s[28:29], s[30:31]
	s_mov_b32 s12, s9
	s_cmp_lg_u64 s[12:13], 0
	s_cbranch_scc0 .LBB9_59
; %bb.9:
	s_ashr_i32 s14, s31, 31
	s_add_u32 s12, s30, s14
	s_mov_b32 s15, s14
	s_addc_u32 s13, s31, s14
	s_xor_b64 s[22:23], s[12:13], s[14:15]
	v_cvt_f32_u32_e32 v1, s22
	v_cvt_f32_u32_e32 v2, s23
	s_sub_u32 s9, 0, s22
	s_subb_u32 s11, 0, s23
	v_madmk_f32 v1, v2, 0x4f800000, v1
	v_rcp_f32_e32 v1, v1
	v_mul_f32_e32 v1, 0x5f7ffffc, v1
	v_mul_f32_e32 v2, 0x2f800000, v1
	v_trunc_f32_e32 v2, v2
	v_madmk_f32 v1, v2, 0xcf800000, v1
	v_cvt_u32_f32_e32 v2, v2
	v_cvt_u32_f32_e32 v1, v1
	v_readfirstlane_b32 s12, v2
	v_readfirstlane_b32 s13, v1
	s_mul_i32 s24, s9, s12
	s_mul_hi_u32 s26, s9, s13
	s_mul_i32 s25, s11, s13
	s_add_i32 s24, s26, s24
	s_add_i32 s24, s24, s25
	s_mul_i32 s27, s9, s13
	s_mul_hi_u32 s25, s13, s24
	s_mul_i32 s26, s13, s24
	s_mul_hi_u32 s13, s13, s27
	s_add_u32 s13, s13, s26
	s_addc_u32 s25, 0, s25
	s_mul_hi_u32 s33, s12, s27
	s_mul_i32 s27, s12, s27
	s_add_u32 s13, s13, s27
	s_mul_hi_u32 s26, s12, s24
	s_addc_u32 s13, s25, s33
	s_addc_u32 s25, s26, 0
	s_mul_i32 s24, s12, s24
	s_add_u32 s13, s13, s24
	s_addc_u32 s24, 0, s25
	v_add_co_u32_e32 v1, vcc, s13, v1
	s_cmp_lg_u64 vcc, 0
	s_addc_u32 s12, s12, s24
	v_readfirstlane_b32 s24, v1
	s_mul_i32 s13, s9, s12
	s_mul_hi_u32 s25, s9, s24
	s_add_i32 s13, s25, s13
	s_mul_i32 s11, s11, s24
	s_add_i32 s13, s13, s11
	s_mul_i32 s9, s9, s24
	s_mul_hi_u32 s25, s12, s9
	s_mul_i32 s26, s12, s9
	s_mul_i32 s33, s24, s13
	s_mul_hi_u32 s9, s24, s9
	s_mul_hi_u32 s27, s24, s13
	s_add_u32 s9, s9, s33
	s_addc_u32 s24, 0, s27
	s_add_u32 s9, s9, s26
	s_mul_hi_u32 s11, s12, s13
	s_addc_u32 s9, s24, s25
	s_addc_u32 s11, s11, 0
	s_mul_i32 s13, s12, s13
	s_add_u32 s9, s9, s13
	s_addc_u32 s11, 0, s11
	v_add_co_u32_e32 v1, vcc, s9, v1
	s_cmp_lg_u64 vcc, 0
	s_addc_u32 s9, s12, s11
	s_ashr_i32 s24, s29, 31
	s_add_u32 s12, s28, s24
	s_mov_b32 s25, s24
	s_addc_u32 s13, s29, s24
	s_xor_b64 s[26:27], s[12:13], s[24:25]
	v_readfirstlane_b32 s13, v1
	s_mul_i32 s12, s26, s9
	s_mul_hi_u32 s29, s26, s13
	s_mul_hi_u32 s11, s26, s9
	s_add_u32 s12, s29, s12
	s_addc_u32 s11, 0, s11
	s_mul_hi_u32 s33, s27, s13
	s_mul_i32 s13, s27, s13
	s_add_u32 s12, s12, s13
	s_mul_hi_u32 s29, s27, s9
	s_addc_u32 s11, s11, s33
	s_addc_u32 s12, s29, 0
	s_mul_i32 s9, s27, s9
	s_add_u32 s9, s11, s9
	s_addc_u32 s11, 0, s12
	s_mul_i32 s12, s22, s11
	s_mul_hi_u32 s13, s22, s9
	s_add_i32 s12, s13, s12
	s_mul_i32 s13, s23, s9
	s_add_i32 s29, s12, s13
	s_mul_i32 s13, s22, s9
	v_mov_b32_e32 v1, s13
	s_sub_i32 s12, s27, s29
	v_sub_co_u32_e32 v1, vcc, s26, v1
	s_cmp_lg_u64 vcc, 0
	s_subb_u32 s26, s12, s23
	v_subrev_co_u32_e64 v2, s[12:13], s22, v1
	s_cmp_lg_u64 s[12:13], 0
	s_subb_u32 s12, s26, 0
	s_cmp_ge_u32 s12, s23
	v_readfirstlane_b32 s26, v2
	s_cselect_b32 s13, -1, 0
	s_cmp_ge_u32 s26, s22
	s_cselect_b32 s26, -1, 0
	s_cmp_eq_u32 s12, s23
	s_cselect_b32 s12, s26, s13
	s_add_u32 s13, s9, 1
	s_addc_u32 s26, s11, 0
	s_add_u32 s33, s9, 2
	s_addc_u32 s34, s11, 0
	s_cmp_lg_u32 s12, 0
	s_cselect_b32 s12, s33, s13
	s_cselect_b32 s13, s34, s26
	s_cmp_lg_u64 vcc, 0
	s_subb_u32 s26, s27, s29
	s_cmp_ge_u32 s26, s23
	v_readfirstlane_b32 s29, v1
	s_cselect_b32 s27, -1, 0
	s_cmp_ge_u32 s29, s22
	s_cselect_b32 s22, -1, 0
	s_cmp_eq_u32 s26, s23
	s_cselect_b32 s22, s22, s27
	s_cmp_lg_u32 s22, 0
	s_cselect_b32 s13, s13, s11
	s_cselect_b32 s12, s12, s9
	s_xor_b64 s[14:15], s[24:25], s[14:15]
	s_xor_b64 s[12:13], s[12:13], s[14:15]
	s_sub_u32 s34, s12, s14
	s_subb_u32 s35, s13, s15
	s_cbranch_execnz .LBB9_11
.LBB9_10:
	v_cvt_f32_u32_e32 v1, s30
	s_sub_i32 s9, 0, s30
	s_mov_b32 s35, 0
	v_rcp_iflag_f32_e32 v1, v1
	v_mul_f32_e32 v1, 0x4f7ffffe, v1
	v_cvt_u32_f32_e32 v1, v1
	v_readfirstlane_b32 s11, v1
	s_mul_i32 s9, s9, s11
	s_mul_hi_u32 s9, s11, s9
	s_add_i32 s11, s11, s9
	s_mul_hi_u32 s9, s28, s11
	s_mul_i32 s12, s9, s30
	s_sub_i32 s12, s28, s12
	s_add_i32 s11, s9, 1
	s_sub_i32 s13, s12, s30
	s_cmp_ge_u32 s12, s30
	s_cselect_b32 s9, s11, s9
	s_cselect_b32 s12, s13, s12
	s_add_i32 s11, s9, 1
	s_cmp_ge_u32 s12, s30
	s_cselect_b32 s34, s11, s9
.LBB9_11:
	s_waitcnt lgkmcnt(0)
	v_cmp_lt_i64_e64 s[12:13], s[30:31], 1
	s_and_b64 vcc, exec, s[12:13]
	s_cbranch_vccnz .LBB9_58
; %bb.12:
	v_bfe_u32 v40, v0, 10, 10
	s_lshl_b32 s9, s10, 5
	v_add_co_u32_e32 v42, vcc, s9, v40
	s_load_dwordx8 s[20:27], s[4:5], 0x40
	v_addc_co_u32_e64 v43, s[10:11], 0, 0, vcc
	s_load_dwordx4 s[40:43], s[4:5], 0x0
	s_load_dwordx4 s[12:15], s[4:5], 0x78
	s_load_dword s38, s[4:5], 0x60
	s_mul_i32 s4, s8, s31
	s_mul_hi_u32 s5, s8, s30
	s_add_i32 s11, s5, s4
	s_mul_i32 s4, s30, s31
	s_mul_hi_u32 s5, s30, s30
	s_add_i32 s5, s5, s4
	s_add_i32 s9, s5, s4
	s_waitcnt lgkmcnt(0)
	s_cmpk_eq_i32 s41, 0x6f
	s_cselect_b64 s[48:49], -1, 0
	s_cmp_lg_u32 s38, 1
	s_cselect_b64 s[50:51], -1, 0
	s_cmp_lg_u32 s42, 0
	v_cmp_gt_i64_e64 s[4:5], s[18:19], v[42:43]
	s_cselect_b64 s[18:19], -1, 0
	s_cmpk_eq_i32 s41, 0x71
	s_cselect_b64 s[42:43], -1, 0
	s_cmpk_lg_i32 s41, 0x71
	s_cselect_b64 s[38:39], -1, 0
	s_cmpk_lg_i32 s40, 0x71
	s_cselect_b64 s[44:45], -1, 0
	v_lshlrev_b64 v[2:3], 4, v[42:43]
	s_and_b64 s[40:41], s[44:45], s[42:43]
	v_and_b32_e32 v44, 0x3ff, v0
	v_mov_b32_e32 v0, s25
	v_add_co_u32_e32 v41, vcc, s24, v2
	s_or_b64 s[38:39], s[44:45], s[38:39]
	s_xor_b64 s[40:41], s[40:41], -1
	s_or_b64 s[42:43], s[44:45], s[42:43]
	v_addc_co_u32_e32 v45, vcc, v0, v3, vcc
	v_lshlrev_b32_e32 v2, 5, v40
	s_cmp_lg_u32 s36, 1
	v_mad_u64_u32 v[46:47], s[44:45], v42, s14, 0
	s_mov_b32 s70, s37
	v_add_lshl_u32 v66, v2, v44, 4
	s_cselect_b64 s[36:37], -1, 0
	v_mul_lo_u32 v2, v43, s14
	v_mul_lo_u32 v3, v42, s15
	s_and_b64 s[44:45], s[6:7], s[4:5]
	v_cmp_neq_f64_e32 vcc, 0, v[36:37]
	v_cmp_neq_f64_e64 s[6:7], 0, v[38:39]
	v_add3_u32 v47, v47, v3, v2
	s_or_b64 s[46:47], vcc, s[6:7]
	s_xor_b64 s[6:7], s[48:49], s[50:51]
	v_mov_b32_e32 v2, 0x4000
	s_xor_b64 s[48:49], s[6:7], -1
	v_lshl_add_u32 v69, v40, 9, v2
	v_mul_lo_u32 v4, s27, v42
	v_mul_lo_u32 v5, s26, v43
	v_mad_u64_u32 v[2:3], s[6:7], s26, v42, 0
	v_add3_u32 v3, v3, v5, v4
	v_lshlrev_b32_e32 v68, 4, v44
	v_lshlrev_b64 v[2:3], 4, v[2:3]
	v_add_co_u32_e32 v2, vcc, v2, v68
	v_addc_co_u32_e32 v3, vcc, 0, v3, vcc
	s_mul_i32 s10, s8, s30
	v_add_co_u32_e32 v48, vcc, s24, v2
	v_addc_co_u32_e32 v49, vcc, v0, v3, vcc
	s_lshl_b64 s[6:7], s[10:11], 4
	v_mov_b32_e32 v0, s7
	v_add_co_u32_e32 v2, vcc, s6, v68
	v_mov_b32_e32 v1, 0
	v_addc_co_u32_e32 v3, vcc, 0, v0, vcc
	v_lshlrev_b32_e32 v0, 4, v40
	s_mul_i32 s33, s30, s30
	v_mad_u64_u32 v[0:1], s[6:7], s30, v2, v[0:1]
	s_mul_i32 s6, s33, s17
	s_mul_hi_u32 s7, s33, s16
	v_mul_lo_u32 v3, s30, v3
	v_mul_lo_u32 v4, s31, v2
	s_add_i32 s6, s7, s6
	s_mul_i32 s7, s9, s16
	v_add3_u32 v1, v4, v1, v3
	v_mov_b32_e32 v70, s23
	v_add_co_u32_e32 v50, vcc, s22, v0
	s_add_i32 s7, s6, s7
	s_mul_i32 s6, s33, s16
	s_mov_b64 s[28:29], 0
	v_add_u32_e32 v67, 0x4000, v66
	s_lshl_b64 s[24:25], s[30:31], 4
	v_addc_co_u32_e32 v51, vcc, v70, v1, vcc
	s_lshl_b64 s[50:51], s[30:31], 9
	s_lshl_b64 s[52:53], s[6:7], 4
	v_cmp_gt_i64_e64 s[54:55], s[34:35], 0
	s_branch .LBB9_14
.LBB9_13:                               ;   in Loop: Header=BB9_14 Depth=1
	s_or_b64 exec, exec, s[6:7]
	s_add_u32 s28, s28, 32
	v_mov_b32_e32 v0, s51
	v_add_co_u32_e32 v50, vcc, s50, v50
	s_addc_u32 s29, s29, 0
	v_addc_co_u32_e32 v51, vcc, v51, v0, vcc
	v_pk_mov_b32 v[0:1], s[30:31], s[30:31] op_sel:[0,1]
	v_cmp_lt_i64_e32 vcc, s[28:29], v[0:1]
	s_cbranch_vccz .LBB9_58
.LBB9_14:                               ; =>This Loop Header: Depth=1
                                        ;     Child Loop BB9_17 Depth 2
                                        ;       Child Loop BB9_20 Depth 3
	v_mov_b32_e32 v0, s29
	v_add_co_u32_e32 v52, vcc, s28, v44
	v_addc_co_u32_e32 v53, vcc, 0, v0, vcc
	v_pk_mov_b32 v[60:61], 0, 0
	s_andn2_b64 vcc, exec, s[54:55]
	v_cmp_gt_i64_e64 s[6:7], s[30:31], v[52:53]
	v_pk_mov_b32 v[62:63], v[60:61], v[60:61] op_sel:[0,1]
	s_cbranch_vccnz .LBB9_49
; %bb.15:                               ;   in Loop: Header=BB9_14 Depth=1
	v_lshlrev_b64 v[0:1], 4, v[52:53]
	v_add_co_u32_e32 v71, vcc, s22, v0
	v_pk_mov_b32 v[60:61], 0, 0
	v_addc_co_u32_e32 v72, vcc, v70, v1, vcc
	s_mov_b64 s[56:57], 0
	v_pk_mov_b32 v[54:55], v[50:51], v[50:51] op_sel:[0,1]
	v_pk_mov_b32 v[62:63], v[60:61], v[60:61] op_sel:[0,1]
	s_branch .LBB9_17
.LBB9_16:                               ;   in Loop: Header=BB9_17 Depth=2
	s_add_u32 s56, s56, 1
	s_addc_u32 s57, s57, 0
	v_mov_b32_e32 v0, s53
	v_add_co_u32_e32 v54, vcc, s52, v54
	s_cmp_eq_u64 s[56:57], s[34:35]
	v_addc_co_u32_e32 v55, vcc, v55, v0, vcc
	s_cbranch_scc1 .LBB9_49
.LBB9_17:                               ;   Parent Loop BB9_14 Depth=1
                                        ; =>  This Loop Header: Depth=2
                                        ;       Child Loop BB9_20 Depth 3
	s_mul_i32 s23, s56, s17
	s_mul_hi_u32 s58, s56, s16
	s_add_i32 s23, s58, s23
	s_mul_i32 s58, s57, s16
	s_add_i32 s23, s23, s58
	s_mul_i32 s58, s56, s16
	s_add_u32 s58, s58, s8
	s_addc_u32 s59, s23, 0
	s_mul_i32 s23, s33, s59
	s_mul_hi_u32 s60, s33, s58
	s_add_i32 s23, s60, s23
	s_mul_i32 s60, s9, s58
	s_add_i32 s61, s23, s60
	s_lshl_b64 s[62:63], s[58:59], 3
	s_add_u32 s62, s20, s62
	s_addc_u32 s63, s21, s63
	s_load_dwordx2 s[62:63], s[62:63], 0x0
	s_mul_i32 s60, s33, s58
	v_pk_mov_b32 v[58:59], v[54:55], v[54:55] op_sel:[0,1]
	s_waitcnt lgkmcnt(0)
	s_sub_u32 s62, s62, s70
	s_subb_u32 s63, s63, 0
	s_lshl_b64 s[60:61], s[60:61], 4
	v_mov_b32_e32 v0, s61
	v_add_co_u32_e32 v73, vcc, s60, v71
	s_mul_i32 s23, s62, s31
	s_mul_hi_u32 s64, s62, s30
	v_addc_co_u32_e32 v74, vcc, v72, v0, vcc
	s_mul_i32 s60, s25, s62
	s_mul_i32 s61, s24, s63
	v_mov_b32_e32 v0, s62
	v_cmp_gt_i64_e64 s[58:59], s[62:63], -1
	s_add_i32 s23, s64, s23
	s_mul_i32 s64, s63, s30
	s_add_i32 s63, s61, s60
	v_mad_u64_u32 v[56:57], s[60:61], s24, v0, v[48:49]
	s_add_i32 s23, s23, s64
	s_mul_i32 s71, s62, s30
	v_add_u32_e32 v57, s63, v57
	s_mov_b64 s[60:61], 0
	s_branch .LBB9_20
.LBB9_18:                               ;   in Loop: Header=BB9_20 Depth=3
	v_pk_mov_b32 v[62:63], v[64:65], v[64:65] op_sel:[0,1]
	v_pk_mov_b32 v[60:61], v[24:25], v[24:25] op_sel:[0,1]
.LBB9_19:                               ;   in Loop: Header=BB9_20 Depth=3
	v_add_co_u32_e32 v56, vcc, 0x200, v56
	v_addc_co_u32_e32 v57, vcc, 0, v57, vcc
	s_add_u32 s60, s60, 32
	v_add_co_u32_e32 v58, vcc, 0x200, v58
	s_addc_u32 s61, s61, 0
	v_addc_co_u32_e32 v59, vcc, 0, v59, vcc
	s_waitcnt lgkmcnt(2)
	v_pk_mov_b32 v[0:1], s[30:31], s[30:31] op_sel:[0,1]
	v_cmp_ge_i64_e32 vcc, s[60:61], v[0:1]
	s_waitcnt lgkmcnt(0)
	s_barrier
	s_cbranch_vccnz .LBB9_16
.LBB9_20:                               ;   Parent Loop BB9_14 Depth=1
                                        ;     Parent Loop BB9_17 Depth=2
                                        ; =>    This Inner Loop Header: Depth=3
	v_mov_b32_e32 v1, s61
	v_add_co_u32_e32 v0, vcc, s60, v44
	v_addc_co_u32_e32 v1, vcc, 0, v1, vcc
	v_cmp_gt_i64_e32 vcc, s[30:31], v[0:1]
	s_and_b64 s[62:63], s[4:5], vcc
	s_and_b64 s[66:67], s[62:63], s[58:59]
	s_and_b64 vcc, exec, s[48:49]
	s_cbranch_vccz .LBB9_24
; %bb.21:                               ;   in Loop: Header=BB9_20 Depth=3
	s_mov_b64 s[64:65], 0
	s_mov_b64 s[62:63], 0
                                        ; implicit-def: $vgpr4_vgpr5
	s_and_saveexec_b64 s[68:69], s[66:67]
	s_xor_b64 s[68:69], exec, s[68:69]
; %bb.22:                               ;   in Loop: Header=BB9_20 Depth=3
	v_mov_b32_e32 v2, s23
	v_add_co_u32_e32 v0, vcc, s71, v0
	v_addc_co_u32_e32 v1, vcc, v1, v2, vcc
	v_mul_lo_u32 v2, v1, s26
	v_mul_lo_u32 v3, v0, s27
	v_mad_u64_u32 v[0:1], s[72:73], v0, s26, 0
	v_add3_u32 v1, v1, v3, v2
	v_lshlrev_b64 v[0:1], 4, v[0:1]
	v_add_co_u32_e32 v4, vcc, v41, v0
	s_mov_b64 s[62:63], exec
	v_addc_co_u32_e32 v5, vcc, v45, v1, vcc
; %bb.23:                               ;   in Loop: Header=BB9_20 Depth=3
	s_or_b64 exec, exec, s[68:69]
	s_and_b64 vcc, exec, s[64:65]
	s_cbranch_vccnz .LBB9_25
	s_branch .LBB9_26
.LBB9_24:                               ;   in Loop: Header=BB9_20 Depth=3
	s_mov_b64 s[64:65], -1
	s_mov_b64 s[62:63], 0
                                        ; implicit-def: $vgpr4_vgpr5
	s_cbranch_execz .LBB9_26
.LBB9_25:                               ;   in Loop: Header=BB9_20 Depth=3
	s_andn2_b64 s[62:63], s[62:63], exec
	s_and_b64 s[66:67], s[66:67], exec
	s_mov_b64 s[64:65], 0
	s_or_b64 s[62:63], s[62:63], s[66:67]
	v_pk_mov_b32 v[4:5], v[56:57], v[56:57] op_sel:[0,1]
.LBB9_26:                               ;   in Loop: Header=BB9_20 Depth=3
	v_pk_mov_b32 v[0:1], s[64:65], s[64:65] op_sel:[0,1]
	v_pk_mov_b32 v[2:3], s[64:65], s[64:65] op_sel:[0,1]
	s_and_saveexec_b64 s[64:65], s[62:63]
	s_cbranch_execz .LBB9_28
; %bb.27:                               ;   in Loop: Header=BB9_20 Depth=3
	global_load_dwordx4 v[0:3], v[4:5], off
.LBB9_28:                               ;   in Loop: Header=BB9_20 Depth=3
	s_or_b64 exec, exec, s[64:65]
	v_mov_b32_e32 v4, s61
	v_add_co_u32_e32 v6, vcc, s60, v40
	v_addc_co_u32_e32 v7, vcc, 0, v4, vcc
	v_cmp_gt_i64_e32 vcc, s[30:31], v[6:7]
	s_and_b64 s[62:63], s[6:7], vcc
	s_and_b64 s[62:63], s[62:63], s[58:59]
	s_and_b64 vcc, exec, s[18:19]
	s_waitcnt vmcnt(0)
	ds_write_b128 v67, v[0:3]
	s_cbranch_vccz .LBB9_40
; %bb.29:                               ;   in Loop: Header=BB9_20 Depth=3
	s_mov_b64 s[66:67], 0
	s_mov_b64 s[64:65], 0
                                        ; implicit-def: $vgpr4_vgpr5
	s_and_saveexec_b64 s[68:69], s[62:63]
	s_xor_b64 s[68:69], exec, s[68:69]
; %bb.30:                               ;   in Loop: Header=BB9_20 Depth=3
	v_mul_lo_u32 v2, v7, s30
	v_mul_lo_u32 v3, v6, s31
	v_mad_u64_u32 v[0:1], s[72:73], v6, s30, 0
	v_add3_u32 v1, v1, v3, v2
	v_lshlrev_b64 v[0:1], 4, v[0:1]
	v_add_co_u32_e32 v4, vcc, v73, v0
	s_mov_b64 s[64:65], exec
	v_addc_co_u32_e32 v5, vcc, v74, v1, vcc
; %bb.31:                               ;   in Loop: Header=BB9_20 Depth=3
	s_or_b64 exec, exec, s[68:69]
	s_and_b64 vcc, exec, s[66:67]
	s_cbranch_vccz .LBB9_33
.LBB9_32:                               ;   in Loop: Header=BB9_20 Depth=3
	s_andn2_b64 s[64:65], s[64:65], exec
	s_and_b64 s[62:63], s[62:63], exec
	s_mov_b64 s[66:67], 0
	s_or_b64 s[64:65], s[64:65], s[62:63]
	v_pk_mov_b32 v[4:5], v[58:59], v[58:59] op_sel:[0,1]
.LBB9_33:                               ;   in Loop: Header=BB9_20 Depth=3
	v_pk_mov_b32 v[0:1], s[66:67], s[66:67] op_sel:[0,1]
	v_pk_mov_b32 v[2:3], s[66:67], s[66:67] op_sel:[0,1]
	s_and_saveexec_b64 s[62:63], s[64:65]
	s_cbranch_execz .LBB9_35
; %bb.34:                               ;   in Loop: Header=BB9_20 Depth=3
	global_load_dwordx4 v[0:3], v[4:5], off
.LBB9_35:                               ;   in Loop: Header=BB9_20 Depth=3
	s_or_b64 exec, exec, s[62:63]
	s_andn2_b64 vcc, exec, s[58:59]
	s_waitcnt vmcnt(0)
	ds_write_b128 v66, v[0:3]
	s_waitcnt lgkmcnt(0)
	s_barrier
	s_cbranch_vccnz .LBB9_19
; %bb.36:                               ;   in Loop: Header=BB9_20 Depth=3
	s_and_b64 vcc, exec, s[38:39]
	s_cbranch_vccz .LBB9_41
; %bb.37:                               ;   in Loop: Header=BB9_20 Depth=3
	s_and_b64 vcc, exec, s[40:41]
	s_cbranch_vccz .LBB9_42
; %bb.38:                               ;   in Loop: Header=BB9_20 Depth=3
	ds_read_b128 v[0:3], v68
	ds_read_b128 v[4:7], v68 offset:512
	ds_read_b128 v[8:11], v68 offset:1024
	s_andn2_b64 vcc, exec, s[42:43]
	s_cbranch_vccnz .LBB9_43
; %bb.39:                               ;   in Loop: Header=BB9_20 Depth=3
	ds_read_b128 v[24:27], v69
	ds_read_b128 v[20:23], v69 offset:16
	ds_read_b128 v[16:19], v69 offset:32
	;; [unrolled: 1-line block ×4, first 2 shown]
	s_waitcnt lgkmcnt(4)
	v_fma_f64 v[64:65], v[0:1], v[24:25], v[62:63]
	v_fma_f64 v[24:25], v[2:3], v[24:25], v[60:61]
	v_fma_f64 v[64:65], -v[2:3], v[26:27], v[64:65]
	v_fmac_f64_e32 v[24:25], v[0:1], v[26:27]
	s_waitcnt lgkmcnt(3)
	v_fmac_f64_e32 v[64:65], v[4:5], v[20:21]
	v_fmac_f64_e32 v[24:25], v[6:7], v[20:21]
	v_fma_f64 v[26:27], -v[6:7], v[22:23], v[64:65]
	v_fmac_f64_e32 v[24:25], v[4:5], v[22:23]
	ds_read_b128 v[20:23], v68 offset:1536
	s_waitcnt lgkmcnt(3)
	v_fmac_f64_e32 v[26:27], v[8:9], v[16:17]
	v_fmac_f64_e32 v[24:25], v[10:11], v[16:17]
	v_fma_f64 v[26:27], -v[10:11], v[18:19], v[26:27]
	v_fmac_f64_e32 v[24:25], v[8:9], v[18:19]
	ds_read_b128 v[16:19], v68 offset:2048
	ds_read_b128 v[76:79], v69 offset:64
	s_waitcnt lgkmcnt(2)
	v_fmac_f64_e32 v[26:27], v[20:21], v[12:13]
	v_fmac_f64_e32 v[24:25], v[22:23], v[12:13]
	v_fma_f64 v[26:27], -v[22:23], v[14:15], v[26:27]
	v_fmac_f64_e32 v[24:25], v[20:21], v[14:15]
	ds_read_b128 v[12:15], v69 offset:80
	;; [unrolled: 7-line block ×28, first 2 shown]
	s_waitcnt lgkmcnt(1)
	v_fmac_f64_e32 v[26:27], v[16:17], v[76:77]
	v_fmac_f64_e32 v[24:25], v[18:19], v[76:77]
	v_fma_f64 v[20:21], -v[18:19], v[78:79], v[26:27]
	v_fmac_f64_e32 v[24:25], v[16:17], v[78:79]
	s_waitcnt lgkmcnt(0)
	v_fmac_f64_e32 v[20:21], v[28:29], v[12:13]
	v_fmac_f64_e32 v[24:25], v[30:31], v[12:13]
	v_fma_f64 v[64:65], -v[30:31], v[14:15], v[20:21]
	v_fmac_f64_e32 v[24:25], v[28:29], v[14:15]
	s_cbranch_execz .LBB9_44
	s_branch .LBB9_45
.LBB9_40:                               ;   in Loop: Header=BB9_20 Depth=3
	s_mov_b64 s[66:67], -1
	s_mov_b64 s[64:65], 0
                                        ; implicit-def: $vgpr4_vgpr5
	s_cbranch_execnz .LBB9_32
	s_branch .LBB9_33
.LBB9_41:                               ;   in Loop: Header=BB9_20 Depth=3
                                        ; implicit-def: $vgpr24_vgpr25
                                        ; implicit-def: $vgpr64_vgpr65
	s_branch .LBB9_48
.LBB9_42:                               ;   in Loop: Header=BB9_20 Depth=3
                                        ; implicit-def: $vgpr24_vgpr25
                                        ; implicit-def: $vgpr64_vgpr65
	s_branch .LBB9_46
.LBB9_43:                               ;   in Loop: Header=BB9_20 Depth=3
                                        ; implicit-def: $vgpr24_vgpr25
                                        ; implicit-def: $vgpr64_vgpr65
.LBB9_44:                               ;   in Loop: Header=BB9_20 Depth=3
	ds_read_b128 v[24:27], v69
	ds_read_b128 v[20:23], v69 offset:16
	ds_read_b128 v[16:19], v69 offset:32
	;; [unrolled: 1-line block ×4, first 2 shown]
	s_waitcnt lgkmcnt(4)
	v_fma_f64 v[64:65], v[0:1], v[24:25], v[62:63]
	v_fmac_f64_e32 v[64:65], v[2:3], v[26:27]
	v_fma_f64 v[2:3], -v[2:3], v[24:25], v[60:61]
	v_fmac_f64_e32 v[2:3], v[0:1], v[26:27]
	s_waitcnt lgkmcnt(3)
	v_fmac_f64_e32 v[64:65], v[4:5], v[20:21]
	v_fmac_f64_e32 v[64:65], v[6:7], v[22:23]
	v_fma_f64 v[6:7], -v[6:7], v[20:21], v[2:3]
	ds_read_b128 v[0:3], v68 offset:1536
	v_fmac_f64_e32 v[6:7], v[4:5], v[22:23]
	s_waitcnt lgkmcnt(3)
	v_fmac_f64_e32 v[64:65], v[8:9], v[16:17]
	v_fma_f64 v[16:17], -v[10:11], v[16:17], v[6:7]
	v_fmac_f64_e32 v[64:65], v[10:11], v[18:19]
	v_fmac_f64_e32 v[16:17], v[8:9], v[18:19]
	ds_read_b128 v[4:7], v68 offset:2048
	ds_read_b128 v[8:11], v69 offset:64
	s_waitcnt lgkmcnt(2)
	v_fmac_f64_e32 v[64:65], v[0:1], v[12:13]
	v_fma_f64 v[16:17], -v[2:3], v[12:13], v[16:17]
	v_fmac_f64_e32 v[64:65], v[2:3], v[14:15]
	v_fmac_f64_e32 v[16:17], v[0:1], v[14:15]
	ds_read_b128 v[0:3], v69 offset:80
	ds_read_b128 v[12:15], v68 offset:2560
	;; [unrolled: 7-line block ×27, first 2 shown]
	s_waitcnt lgkmcnt(2)
	v_fmac_f64_e32 v[64:65], v[12:13], v[0:1]
	v_fmac_f64_e32 v[64:65], v[14:15], v[2:3]
	v_fma_f64 v[14:15], -v[14:15], v[0:1], v[16:17]
	v_fmac_f64_e32 v[14:15], v[12:13], v[2:3]
	ds_read_b128 v[0:3], v69 offset:496
	s_waitcnt lgkmcnt(1)
	v_fmac_f64_e32 v[64:65], v[4:5], v[8:9]
	v_fmac_f64_e32 v[64:65], v[6:7], v[10:11]
	v_fma_f64 v[6:7], -v[6:7], v[8:9], v[14:15]
	v_fmac_f64_e32 v[6:7], v[4:5], v[10:11]
	s_waitcnt lgkmcnt(0)
	v_fmac_f64_e32 v[64:65], v[28:29], v[0:1]
	v_fma_f64 v[24:25], -v[30:31], v[0:1], v[6:7]
	v_fmac_f64_e32 v[64:65], v[30:31], v[2:3]
	v_fmac_f64_e32 v[24:25], v[28:29], v[2:3]
.LBB9_45:                               ;   in Loop: Header=BB9_20 Depth=3
	s_cbranch_execnz .LBB9_47
.LBB9_46:                               ;   in Loop: Header=BB9_20 Depth=3
	s_waitcnt lgkmcnt(2)
	ds_read_b128 v[0:3], v68
	s_waitcnt lgkmcnt(2)
	ds_read_b128 v[4:7], v69
	s_waitcnt lgkmcnt(2)
	ds_read_b128 v[8:11], v69 offset:16
	ds_read_b128 v[12:15], v69 offset:32
	;; [unrolled: 1-line block ×4, first 2 shown]
	s_waitcnt lgkmcnt(4)
	v_fma_f64 v[64:65], v[0:1], v[4:5], v[62:63]
	v_fmac_f64_e32 v[64:65], v[2:3], v[6:7]
	v_fma_f64 v[2:3], v[2:3], v[4:5], v[60:61]
	v_fma_f64 v[4:5], v[0:1], -v[6:7], v[2:3]
	ds_read_b128 v[0:3], v68 offset:1024
	s_waitcnt lgkmcnt(1)
	v_fmac_f64_e32 v[4:5], v[22:23], v[8:9]
	v_fmac_f64_e32 v[64:65], v[20:21], v[8:9]
	v_fma_f64 v[8:9], v[20:21], -v[10:11], v[4:5]
	ds_read_b128 v[4:7], v68 offset:1536
	v_fmac_f64_e32 v[64:65], v[22:23], v[10:11]
	s_waitcnt lgkmcnt(1)
	v_fmac_f64_e32 v[64:65], v[0:1], v[12:13]
	v_fmac_f64_e32 v[8:9], v[2:3], v[12:13]
	v_fmac_f64_e32 v[64:65], v[2:3], v[14:15]
	v_fma_f64 v[12:13], v[0:1], -v[14:15], v[8:9]
	ds_read_b128 v[0:3], v69 offset:64
	ds_read_b128 v[8:11], v68 offset:2048
	s_waitcnt lgkmcnt(2)
	v_fmac_f64_e32 v[64:65], v[4:5], v[16:17]
	v_fmac_f64_e32 v[12:13], v[6:7], v[16:17]
	v_fmac_f64_e32 v[64:65], v[6:7], v[18:19]
	v_fma_f64 v[16:17], v[4:5], -v[18:19], v[12:13]
	ds_read_b128 v[4:7], v68 offset:2560
	ds_read_b128 v[12:15], v69 offset:80
	;; [unrolled: 7-line block ×28, first 2 shown]
	s_waitcnt lgkmcnt(2)
	v_fmac_f64_e32 v[64:65], v[8:9], v[0:1]
	v_fmac_f64_e32 v[16:17], v[10:11], v[0:1]
	;; [unrolled: 1-line block ×3, first 2 shown]
	v_fma_f64 v[0:1], v[8:9], -v[2:3], v[16:17]
	s_waitcnt lgkmcnt(0)
	v_fmac_f64_e32 v[64:65], v[4:5], v[12:13]
	v_fmac_f64_e32 v[0:1], v[6:7], v[12:13]
	;; [unrolled: 1-line block ×3, first 2 shown]
	v_fma_f64 v[24:25], v[4:5], -v[14:15], v[0:1]
.LBB9_47:                               ;   in Loop: Header=BB9_20 Depth=3
	s_cbranch_execnz .LBB9_18
.LBB9_48:                               ;   in Loop: Header=BB9_20 Depth=3
	s_waitcnt lgkmcnt(2)
	ds_read_b128 v[0:3], v68
	s_waitcnt lgkmcnt(2)
	ds_read_b128 v[4:7], v69
	s_waitcnt lgkmcnt(2)
	ds_read_b128 v[8:11], v69 offset:16
	ds_read_b128 v[12:15], v69 offset:32
	;; [unrolled: 1-line block ×4, first 2 shown]
	s_waitcnt lgkmcnt(4)
	v_fmac_f64_e32 v[62:63], v[0:1], v[4:5]
	v_fma_f64 v[24:25], v[2:3], -v[6:7], v[62:63]
	v_fma_f64 v[2:3], -v[2:3], v[4:5], v[60:61]
	v_fma_f64 v[4:5], v[0:1], -v[6:7], v[2:3]
	ds_read_b128 v[0:3], v68 offset:1024
	s_waitcnt lgkmcnt(1)
	v_fma_f64 v[4:5], -v[22:23], v[8:9], v[4:5]
	v_fmac_f64_e32 v[24:25], v[20:21], v[8:9]
	v_fma_f64 v[8:9], v[20:21], -v[10:11], v[4:5]
	ds_read_b128 v[4:7], v68 offset:1536
	v_fma_f64 v[24:25], v[22:23], -v[10:11], v[24:25]
	s_waitcnt lgkmcnt(1)
	v_fmac_f64_e32 v[24:25], v[0:1], v[12:13]
	v_fma_f64 v[10:11], v[2:3], -v[14:15], v[24:25]
	v_fma_f64 v[2:3], -v[2:3], v[12:13], v[8:9]
	s_waitcnt lgkmcnt(0)
	v_fmac_f64_e32 v[10:11], v[4:5], v[16:17]
	v_fma_f64 v[12:13], v[0:1], -v[14:15], v[2:3]
	v_fma_f64 v[20:21], v[6:7], -v[18:19], v[10:11]
	ds_read_b128 v[0:3], v69 offset:64
	ds_read_b128 v[8:11], v68 offset:2048
	v_fma_f64 v[6:7], -v[6:7], v[16:17], v[12:13]
	v_fma_f64 v[16:17], v[4:5], -v[18:19], v[6:7]
	ds_read_b128 v[4:7], v68 offset:2560
	ds_read_b128 v[12:15], v69 offset:80
	s_waitcnt lgkmcnt(2)
	v_fmac_f64_e32 v[20:21], v[8:9], v[0:1]
	v_fma_f64 v[18:19], v[10:11], -v[2:3], v[20:21]
	v_fma_f64 v[0:1], -v[10:11], v[0:1], v[16:17]
	v_fma_f64 v[16:17], v[8:9], -v[2:3], v[0:1]
	s_waitcnt lgkmcnt(0)
	v_fmac_f64_e32 v[18:19], v[4:5], v[12:13]
	ds_read_b128 v[0:3], v69 offset:96
	ds_read_b128 v[8:11], v68 offset:3072
	v_fma_f64 v[18:19], v[6:7], -v[14:15], v[18:19]
	v_fma_f64 v[6:7], -v[6:7], v[12:13], v[16:17]
	v_fma_f64 v[16:17], v[4:5], -v[14:15], v[6:7]
	ds_read_b128 v[4:7], v68 offset:3584
	ds_read_b128 v[12:15], v69 offset:112
	s_waitcnt lgkmcnt(2)
	v_fmac_f64_e32 v[18:19], v[8:9], v[0:1]
	v_fma_f64 v[18:19], v[10:11], -v[2:3], v[18:19]
	v_fma_f64 v[0:1], -v[10:11], v[0:1], v[16:17]
	v_fma_f64 v[16:17], v[8:9], -v[2:3], v[0:1]
	s_waitcnt lgkmcnt(0)
	v_fmac_f64_e32 v[18:19], v[4:5], v[12:13]
	ds_read_b128 v[0:3], v69 offset:128
	ds_read_b128 v[8:11], v68 offset:4096
	v_fma_f64 v[18:19], v[6:7], -v[14:15], v[18:19]
	v_fma_f64 v[6:7], -v[6:7], v[12:13], v[16:17]
	v_fma_f64 v[16:17], v[4:5], -v[14:15], v[6:7]
	ds_read_b128 v[4:7], v68 offset:4608
	ds_read_b128 v[12:15], v69 offset:144
	s_waitcnt lgkmcnt(2)
	v_fmac_f64_e32 v[18:19], v[8:9], v[0:1]
	v_fma_f64 v[18:19], v[10:11], -v[2:3], v[18:19]
	v_fma_f64 v[0:1], -v[10:11], v[0:1], v[16:17]
	v_fma_f64 v[16:17], v[8:9], -v[2:3], v[0:1]
	s_waitcnt lgkmcnt(0)
	v_fmac_f64_e32 v[18:19], v[4:5], v[12:13]
	ds_read_b128 v[0:3], v69 offset:160
	ds_read_b128 v[8:11], v68 offset:5120
	v_fma_f64 v[18:19], v[6:7], -v[14:15], v[18:19]
	v_fma_f64 v[6:7], -v[6:7], v[12:13], v[16:17]
	v_fma_f64 v[16:17], v[4:5], -v[14:15], v[6:7]
	ds_read_b128 v[4:7], v68 offset:5632
	ds_read_b128 v[12:15], v69 offset:176
	s_waitcnt lgkmcnt(2)
	v_fmac_f64_e32 v[18:19], v[8:9], v[0:1]
	v_fma_f64 v[18:19], v[10:11], -v[2:3], v[18:19]
	v_fma_f64 v[0:1], -v[10:11], v[0:1], v[16:17]
	v_fma_f64 v[16:17], v[8:9], -v[2:3], v[0:1]
	s_waitcnt lgkmcnt(0)
	v_fmac_f64_e32 v[18:19], v[4:5], v[12:13]
	ds_read_b128 v[0:3], v69 offset:192
	ds_read_b128 v[8:11], v68 offset:6144
	v_fma_f64 v[18:19], v[6:7], -v[14:15], v[18:19]
	v_fma_f64 v[6:7], -v[6:7], v[12:13], v[16:17]
	v_fma_f64 v[16:17], v[4:5], -v[14:15], v[6:7]
	ds_read_b128 v[4:7], v68 offset:6656
	ds_read_b128 v[12:15], v69 offset:208
	s_waitcnt lgkmcnt(2)
	v_fmac_f64_e32 v[18:19], v[8:9], v[0:1]
	v_fma_f64 v[18:19], v[10:11], -v[2:3], v[18:19]
	v_fma_f64 v[0:1], -v[10:11], v[0:1], v[16:17]
	v_fma_f64 v[16:17], v[8:9], -v[2:3], v[0:1]
	s_waitcnt lgkmcnt(0)
	v_fmac_f64_e32 v[18:19], v[4:5], v[12:13]
	ds_read_b128 v[0:3], v69 offset:224
	ds_read_b128 v[8:11], v68 offset:7168
	v_fma_f64 v[18:19], v[6:7], -v[14:15], v[18:19]
	v_fma_f64 v[6:7], -v[6:7], v[12:13], v[16:17]
	v_fma_f64 v[16:17], v[4:5], -v[14:15], v[6:7]
	ds_read_b128 v[4:7], v68 offset:7680
	ds_read_b128 v[12:15], v69 offset:240
	s_waitcnt lgkmcnt(2)
	v_fmac_f64_e32 v[18:19], v[8:9], v[0:1]
	v_fma_f64 v[18:19], v[10:11], -v[2:3], v[18:19]
	v_fma_f64 v[0:1], -v[10:11], v[0:1], v[16:17]
	v_fma_f64 v[16:17], v[8:9], -v[2:3], v[0:1]
	s_waitcnt lgkmcnt(0)
	v_fmac_f64_e32 v[18:19], v[4:5], v[12:13]
	ds_read_b128 v[0:3], v69 offset:256
	ds_read_b128 v[8:11], v68 offset:8192
	v_fma_f64 v[18:19], v[6:7], -v[14:15], v[18:19]
	v_fma_f64 v[6:7], -v[6:7], v[12:13], v[16:17]
	v_fma_f64 v[16:17], v[4:5], -v[14:15], v[6:7]
	ds_read_b128 v[4:7], v68 offset:8704
	ds_read_b128 v[12:15], v69 offset:272
	s_waitcnt lgkmcnt(2)
	v_fmac_f64_e32 v[18:19], v[8:9], v[0:1]
	v_fma_f64 v[18:19], v[10:11], -v[2:3], v[18:19]
	v_fma_f64 v[0:1], -v[10:11], v[0:1], v[16:17]
	v_fma_f64 v[16:17], v[8:9], -v[2:3], v[0:1]
	s_waitcnt lgkmcnt(0)
	v_fmac_f64_e32 v[18:19], v[4:5], v[12:13]
	ds_read_b128 v[0:3], v69 offset:288
	ds_read_b128 v[8:11], v68 offset:9216
	v_fma_f64 v[18:19], v[6:7], -v[14:15], v[18:19]
	v_fma_f64 v[6:7], -v[6:7], v[12:13], v[16:17]
	v_fma_f64 v[16:17], v[4:5], -v[14:15], v[6:7]
	ds_read_b128 v[4:7], v68 offset:9728
	ds_read_b128 v[12:15], v69 offset:304
	s_waitcnt lgkmcnt(2)
	v_fmac_f64_e32 v[18:19], v[8:9], v[0:1]
	v_fma_f64 v[18:19], v[10:11], -v[2:3], v[18:19]
	v_fma_f64 v[0:1], -v[10:11], v[0:1], v[16:17]
	v_fma_f64 v[16:17], v[8:9], -v[2:3], v[0:1]
	s_waitcnt lgkmcnt(0)
	v_fmac_f64_e32 v[18:19], v[4:5], v[12:13]
	ds_read_b128 v[0:3], v69 offset:320
	ds_read_b128 v[8:11], v68 offset:10240
	v_fma_f64 v[18:19], v[6:7], -v[14:15], v[18:19]
	v_fma_f64 v[6:7], -v[6:7], v[12:13], v[16:17]
	v_fma_f64 v[16:17], v[4:5], -v[14:15], v[6:7]
	ds_read_b128 v[4:7], v68 offset:10752
	ds_read_b128 v[12:15], v69 offset:336
	s_waitcnt lgkmcnt(2)
	v_fmac_f64_e32 v[18:19], v[8:9], v[0:1]
	v_fma_f64 v[18:19], v[10:11], -v[2:3], v[18:19]
	v_fma_f64 v[0:1], -v[10:11], v[0:1], v[16:17]
	v_fma_f64 v[16:17], v[8:9], -v[2:3], v[0:1]
	s_waitcnt lgkmcnt(0)
	v_fmac_f64_e32 v[18:19], v[4:5], v[12:13]
	ds_read_b128 v[0:3], v69 offset:352
	ds_read_b128 v[8:11], v68 offset:11264
	v_fma_f64 v[18:19], v[6:7], -v[14:15], v[18:19]
	v_fma_f64 v[6:7], -v[6:7], v[12:13], v[16:17]
	v_fma_f64 v[16:17], v[4:5], -v[14:15], v[6:7]
	ds_read_b128 v[4:7], v68 offset:11776
	ds_read_b128 v[12:15], v69 offset:368
	s_waitcnt lgkmcnt(2)
	v_fmac_f64_e32 v[18:19], v[8:9], v[0:1]
	v_fma_f64 v[18:19], v[10:11], -v[2:3], v[18:19]
	v_fma_f64 v[0:1], -v[10:11], v[0:1], v[16:17]
	v_fma_f64 v[16:17], v[8:9], -v[2:3], v[0:1]
	s_waitcnt lgkmcnt(0)
	v_fmac_f64_e32 v[18:19], v[4:5], v[12:13]
	ds_read_b128 v[0:3], v69 offset:384
	ds_read_b128 v[8:11], v68 offset:12288
	v_fma_f64 v[18:19], v[6:7], -v[14:15], v[18:19]
	v_fma_f64 v[6:7], -v[6:7], v[12:13], v[16:17]
	v_fma_f64 v[16:17], v[4:5], -v[14:15], v[6:7]
	ds_read_b128 v[4:7], v68 offset:12800
	ds_read_b128 v[12:15], v69 offset:400
	s_waitcnt lgkmcnt(2)
	v_fmac_f64_e32 v[18:19], v[8:9], v[0:1]
	v_fma_f64 v[18:19], v[10:11], -v[2:3], v[18:19]
	v_fma_f64 v[0:1], -v[10:11], v[0:1], v[16:17]
	v_fma_f64 v[16:17], v[8:9], -v[2:3], v[0:1]
	s_waitcnt lgkmcnt(0)
	v_fmac_f64_e32 v[18:19], v[4:5], v[12:13]
	ds_read_b128 v[0:3], v69 offset:416
	ds_read_b128 v[8:11], v68 offset:13312
	v_fma_f64 v[18:19], v[6:7], -v[14:15], v[18:19]
	v_fma_f64 v[6:7], -v[6:7], v[12:13], v[16:17]
	v_fma_f64 v[16:17], v[4:5], -v[14:15], v[6:7]
	ds_read_b128 v[4:7], v68 offset:13824
	ds_read_b128 v[12:15], v69 offset:432
	s_waitcnt lgkmcnt(2)
	v_fmac_f64_e32 v[18:19], v[8:9], v[0:1]
	v_fma_f64 v[18:19], v[10:11], -v[2:3], v[18:19]
	v_fma_f64 v[0:1], -v[10:11], v[0:1], v[16:17]
	v_fma_f64 v[16:17], v[8:9], -v[2:3], v[0:1]
	s_waitcnt lgkmcnt(0)
	v_fmac_f64_e32 v[18:19], v[4:5], v[12:13]
	ds_read_b128 v[0:3], v69 offset:448
	ds_read_b128 v[8:11], v68 offset:14336
	v_fma_f64 v[18:19], v[6:7], -v[14:15], v[18:19]
	v_fma_f64 v[6:7], -v[6:7], v[12:13], v[16:17]
	v_fma_f64 v[16:17], v[4:5], -v[14:15], v[6:7]
	ds_read_b128 v[4:7], v68 offset:14848
	ds_read_b128 v[12:15], v69 offset:464
	s_waitcnt lgkmcnt(2)
	v_fmac_f64_e32 v[18:19], v[8:9], v[0:1]
	v_fma_f64 v[18:19], v[10:11], -v[2:3], v[18:19]
	v_fma_f64 v[0:1], -v[10:11], v[0:1], v[16:17]
	v_fma_f64 v[16:17], v[8:9], -v[2:3], v[0:1]
	s_waitcnt lgkmcnt(0)
	v_fmac_f64_e32 v[18:19], v[4:5], v[12:13]
	ds_read_b128 v[0:3], v69 offset:480
	ds_read_b128 v[8:11], v68 offset:15360
	v_fma_f64 v[18:19], v[6:7], -v[14:15], v[18:19]
	v_fma_f64 v[6:7], -v[6:7], v[12:13], v[16:17]
	v_fma_f64 v[16:17], v[4:5], -v[14:15], v[6:7]
	ds_read_b128 v[4:7], v68 offset:15872
	ds_read_b128 v[12:15], v69 offset:496
	s_waitcnt lgkmcnt(2)
	v_fmac_f64_e32 v[18:19], v[8:9], v[0:1]
	v_fma_f64 v[0:1], -v[10:11], v[0:1], v[16:17]
	v_fma_f64 v[18:19], v[10:11], -v[2:3], v[18:19]
	v_fma_f64 v[0:1], v[8:9], -v[2:3], v[0:1]
	s_waitcnt lgkmcnt(0)
	v_fmac_f64_e32 v[18:19], v[4:5], v[12:13]
	v_fma_f64 v[0:1], -v[6:7], v[12:13], v[0:1]
	v_fma_f64 v[64:65], v[6:7], -v[14:15], v[18:19]
	v_fma_f64 v[24:25], v[4:5], -v[14:15], v[0:1]
	s_branch .LBB9_18
.LBB9_49:                               ;   in Loop: Header=BB9_14 Depth=1
	v_mov_b32_e32 v0, s11
	v_add_co_u32_e32 v2, vcc, s10, v52
	v_addc_co_u32_e32 v3, vcc, v53, v0, vcc
	s_and_b64 vcc, exec, s[36:37]
	s_cbranch_vccz .LBB9_51
; %bb.50:                               ;   in Loop: Header=BB9_14 Depth=1
	v_mad_u64_u32 v[0:1], s[6:7], v2, s14, v[42:43]
	v_mul_lo_u32 v4, v2, s15
	v_mul_lo_u32 v5, v3, s14
	v_add3_u32 v1, v5, v1, v4
	s_cbranch_execz .LBB9_52
	s_branch .LBB9_53
.LBB9_51:                               ;   in Loop: Header=BB9_14 Depth=1
                                        ; implicit-def: $vgpr0_vgpr1
.LBB9_52:                               ;   in Loop: Header=BB9_14 Depth=1
	v_add_co_u32_e32 v0, vcc, v2, v46
	v_addc_co_u32_e32 v1, vcc, v3, v47, vcc
.LBB9_53:                               ;   in Loop: Header=BB9_14 Depth=1
	v_cmp_gt_i64_e32 vcc, s[30:31], v[52:53]
	s_and_b64 s[56:57], s[44:45], vcc
	s_and_saveexec_b64 s[6:7], s[56:57]
	s_cbranch_execz .LBB9_13
; %bb.54:                               ;   in Loop: Header=BB9_14 Depth=1
	v_lshlrev_b64 v[4:5], 4, v[0:1]
	v_mul_f64 v[0:1], v[60:61], -v[34:35]
	v_mul_f64 v[2:3], v[32:33], v[60:61]
	v_fmac_f64_e32 v[0:1], v[32:33], v[62:63]
	v_fmac_f64_e32 v[2:3], v[34:35], v[62:63]
	s_and_saveexec_b64 s[56:57], s[46:47]
	s_xor_b64 s[56:57], exec, s[56:57]
	s_cbranch_execz .LBB9_56
; %bb.55:                               ;   in Loop: Header=BB9_14 Depth=1
	v_mov_b32_e32 v6, s13
	v_add_co_u32_e32 v8, vcc, s12, v4
	v_addc_co_u32_e32 v9, vcc, v6, v5, vcc
	global_load_dwordx4 v[4:7], v[8:9], off
	s_waitcnt vmcnt(0)
	v_fmac_f64_e32 v[0:1], v[36:37], v[4:5]
	v_fmac_f64_e32 v[2:3], v[38:39], v[4:5]
	v_fma_f64 v[0:1], -v[38:39], v[6:7], v[0:1]
	v_fmac_f64_e32 v[2:3], v[36:37], v[6:7]
	global_store_dwordx4 v[8:9], v[0:3], off
                                        ; implicit-def: $vgpr0_vgpr1
                                        ; implicit-def: $vgpr4_vgpr5
.LBB9_56:                               ;   in Loop: Header=BB9_14 Depth=1
	s_andn2_saveexec_b64 s[56:57], s[56:57]
	s_cbranch_execz .LBB9_13
; %bb.57:                               ;   in Loop: Header=BB9_14 Depth=1
	v_mov_b32_e32 v6, s13
	v_add_co_u32_e32 v4, vcc, s12, v4
	v_addc_co_u32_e32 v5, vcc, v6, v5, vcc
	global_store_dwordx4 v[4:5], v[0:3], off
	s_branch .LBB9_13
.LBB9_58:
	s_endpgm
.LBB9_59:
                                        ; implicit-def: $sgpr34_sgpr35
	s_branch .LBB9_10
	.section	.rodata,"a",@progbits
	.p2align	6, 0x0
	.amdhsa_kernel _ZN9rocsparseL30bellmm_general_blockdim_kernelILi32ELi32E21rocsparse_complex_numIdElS2_S2_S2_EEv20rocsparse_operation_S3_20rocsparse_direction_T2_S5_NS_24const_host_device_scalarIT1_EES5_S5_PKS5_PKT3_PKT4_l16rocsparse_order_S8_PT5_lSH_21rocsparse_index_base_b
		.amdhsa_group_segment_fixed_size 32768
		.amdhsa_private_segment_fixed_size 24
		.amdhsa_kernarg_size 148
		.amdhsa_user_sgpr_count 8
		.amdhsa_user_sgpr_private_segment_buffer 1
		.amdhsa_user_sgpr_dispatch_ptr 0
		.amdhsa_user_sgpr_queue_ptr 0
		.amdhsa_user_sgpr_kernarg_segment_ptr 1
		.amdhsa_user_sgpr_dispatch_id 0
		.amdhsa_user_sgpr_flat_scratch_init 1
		.amdhsa_user_sgpr_kernarg_preload_length 0
		.amdhsa_user_sgpr_kernarg_preload_offset 0
		.amdhsa_user_sgpr_private_segment_size 0
		.amdhsa_uses_dynamic_stack 0
		.amdhsa_system_sgpr_private_segment_wavefront_offset 1
		.amdhsa_system_sgpr_workgroup_id_x 1
		.amdhsa_system_sgpr_workgroup_id_y 1
		.amdhsa_system_sgpr_workgroup_id_z 0
		.amdhsa_system_sgpr_workgroup_info 0
		.amdhsa_system_vgpr_workitem_id 1
		.amdhsa_next_free_vgpr 80
		.amdhsa_next_free_sgpr 74
		.amdhsa_accum_offset 80
		.amdhsa_reserve_vcc 1
		.amdhsa_reserve_flat_scratch 1
		.amdhsa_float_round_mode_32 0
		.amdhsa_float_round_mode_16_64 0
		.amdhsa_float_denorm_mode_32 3
		.amdhsa_float_denorm_mode_16_64 3
		.amdhsa_dx10_clamp 1
		.amdhsa_ieee_mode 1
		.amdhsa_fp16_overflow 0
		.amdhsa_tg_split 0
		.amdhsa_exception_fp_ieee_invalid_op 0
		.amdhsa_exception_fp_denorm_src 0
		.amdhsa_exception_fp_ieee_div_zero 0
		.amdhsa_exception_fp_ieee_overflow 0
		.amdhsa_exception_fp_ieee_underflow 0
		.amdhsa_exception_fp_ieee_inexact 0
		.amdhsa_exception_int_div_zero 0
	.end_amdhsa_kernel
	.section	.text._ZN9rocsparseL30bellmm_general_blockdim_kernelILi32ELi32E21rocsparse_complex_numIdElS2_S2_S2_EEv20rocsparse_operation_S3_20rocsparse_direction_T2_S5_NS_24const_host_device_scalarIT1_EES5_S5_PKS5_PKT3_PKT4_l16rocsparse_order_S8_PT5_lSH_21rocsparse_index_base_b,"axG",@progbits,_ZN9rocsparseL30bellmm_general_blockdim_kernelILi32ELi32E21rocsparse_complex_numIdElS2_S2_S2_EEv20rocsparse_operation_S3_20rocsparse_direction_T2_S5_NS_24const_host_device_scalarIT1_EES5_S5_PKS5_PKT3_PKT4_l16rocsparse_order_S8_PT5_lSH_21rocsparse_index_base_b,comdat
.Lfunc_end9:
	.size	_ZN9rocsparseL30bellmm_general_blockdim_kernelILi32ELi32E21rocsparse_complex_numIdElS2_S2_S2_EEv20rocsparse_operation_S3_20rocsparse_direction_T2_S5_NS_24const_host_device_scalarIT1_EES5_S5_PKS5_PKT3_PKT4_l16rocsparse_order_S8_PT5_lSH_21rocsparse_index_base_b, .Lfunc_end9-_ZN9rocsparseL30bellmm_general_blockdim_kernelILi32ELi32E21rocsparse_complex_numIdElS2_S2_S2_EEv20rocsparse_operation_S3_20rocsparse_direction_T2_S5_NS_24const_host_device_scalarIT1_EES5_S5_PKS5_PKT3_PKT4_l16rocsparse_order_S8_PT5_lSH_21rocsparse_index_base_b
                                        ; -- End function
	.section	.AMDGPU.csdata,"",@progbits
; Kernel info:
; codeLenInByte = 8016
; NumSgprs: 80
; NumVgprs: 80
; NumAgprs: 0
; TotalNumVgprs: 80
; ScratchSize: 24
; MemoryBound: 1
; FloatMode: 240
; IeeeMode: 1
; LDSByteSize: 32768 bytes/workgroup (compile time only)
; SGPRBlocks: 9
; VGPRBlocks: 9
; NumSGPRsForWavesPerEU: 80
; NumVGPRsForWavesPerEU: 80
; AccumOffset: 80
; Occupancy: 6
; WaveLimiterHint : 1
; COMPUTE_PGM_RSRC2:SCRATCH_EN: 1
; COMPUTE_PGM_RSRC2:USER_SGPR: 8
; COMPUTE_PGM_RSRC2:TRAP_HANDLER: 0
; COMPUTE_PGM_RSRC2:TGID_X_EN: 1
; COMPUTE_PGM_RSRC2:TGID_Y_EN: 1
; COMPUTE_PGM_RSRC2:TGID_Z_EN: 0
; COMPUTE_PGM_RSRC2:TIDIG_COMP_CNT: 1
; COMPUTE_PGM_RSRC3_GFX90A:ACCUM_OFFSET: 19
; COMPUTE_PGM_RSRC3_GFX90A:TG_SPLIT: 0
	.text
	.p2alignl 6, 3212836864
	.fill 256, 4, 3212836864
	.type	__hip_cuid_cb840055e4b1a284,@object ; @__hip_cuid_cb840055e4b1a284
	.section	.bss,"aw",@nobits
	.globl	__hip_cuid_cb840055e4b1a284
__hip_cuid_cb840055e4b1a284:
	.byte	0                               ; 0x0
	.size	__hip_cuid_cb840055e4b1a284, 1

	.ident	"AMD clang version 19.0.0git (https://github.com/RadeonOpenCompute/llvm-project roc-6.4.0 25133 c7fe45cf4b819c5991fe208aaa96edf142730f1d)"
	.section	".note.GNU-stack","",@progbits
	.addrsig
	.addrsig_sym __hip_cuid_cb840055e4b1a284
	.amdgpu_metadata
---
amdhsa.kernels:
  - .agpr_count:     0
    .args:
      - .offset:         0
        .size:           4
        .value_kind:     by_value
      - .offset:         4
        .size:           4
        .value_kind:     by_value
      - .offset:         8
        .size:           4
        .value_kind:     by_value
      - .offset:         12
        .size:           4
        .value_kind:     by_value
      - .offset:         16
        .size:           4
        .value_kind:     by_value
      - .offset:         24
        .size:           8
        .value_kind:     by_value
      - .offset:         32
        .size:           4
        .value_kind:     by_value
      - .offset:         36
        .size:           4
        .value_kind:     by_value
      - .actual_access:  read_only
        .address_space:  global
        .offset:         40
        .size:           8
        .value_kind:     global_buffer
      - .actual_access:  read_only
        .address_space:  global
        .offset:         48
        .size:           8
        .value_kind:     global_buffer
      - .actual_access:  read_only
        .address_space:  global
        .offset:         56
        .size:           8
        .value_kind:     global_buffer
      - .offset:         64
        .size:           8
        .value_kind:     by_value
      - .offset:         72
        .size:           4
        .value_kind:     by_value
      - .offset:         80
        .size:           8
        .value_kind:     by_value
      - .address_space:  global
        .offset:         88
        .size:           8
        .value_kind:     global_buffer
      - .offset:         96
        .size:           8
        .value_kind:     by_value
      - .offset:         104
        .size:           4
        .value_kind:     by_value
      - .offset:         108
        .size:           4
        .value_kind:     by_value
      - .offset:         112
        .size:           1
        .value_kind:     by_value
    .group_segment_fixed_size: 8192
    .kernarg_segment_align: 8
    .kernarg_segment_size: 116
    .language:       OpenCL C
    .language_version:
      - 2
      - 0
    .max_flat_workgroup_size: 1024
    .name:           _ZN9rocsparseL30bellmm_general_blockdim_kernelILi32ELi32EiiiiiEEv20rocsparse_operation_S1_20rocsparse_direction_T2_S3_NS_24const_host_device_scalarIT1_EES3_S3_PKS3_PKT3_PKT4_l16rocsparse_order_S6_PT5_lSF_21rocsparse_index_base_b
    .private_segment_fixed_size: 0
    .sgpr_count:     58
    .sgpr_spill_count: 0
    .symbol:         _ZN9rocsparseL30bellmm_general_blockdim_kernelILi32ELi32EiiiiiEEv20rocsparse_operation_S1_20rocsparse_direction_T2_S3_NS_24const_host_device_scalarIT1_EES3_S3_PKS3_PKT3_PKT4_l16rocsparse_order_S6_PT5_lSF_21rocsparse_index_base_b.kd
    .uniform_work_group_size: 1
    .uses_dynamic_stack: false
    .vgpr_count:     63
    .vgpr_spill_count: 0
    .wavefront_size: 64
  - .agpr_count:     0
    .args:
      - .offset:         0
        .size:           4
        .value_kind:     by_value
      - .offset:         4
        .size:           4
        .value_kind:     by_value
      - .offset:         8
        .size:           4
        .value_kind:     by_value
      - .offset:         16
        .size:           8
        .value_kind:     by_value
      - .offset:         24
        .size:           8
        .value_kind:     by_value
      - .offset:         32
        .size:           8
        .value_kind:     by_value
      - .offset:         40
        .size:           8
        .value_kind:     by_value
      - .offset:         48
        .size:           8
        .value_kind:     by_value
      - .actual_access:  read_only
        .address_space:  global
        .offset:         56
        .size:           8
        .value_kind:     global_buffer
      - .actual_access:  read_only
        .address_space:  global
        .offset:         64
        .size:           8
        .value_kind:     global_buffer
      - .actual_access:  read_only
        .address_space:  global
        .offset:         72
        .size:           8
        .value_kind:     global_buffer
      - .offset:         80
        .size:           8
        .value_kind:     by_value
      - .offset:         88
        .size:           4
        .value_kind:     by_value
      - .offset:         96
        .size:           8
        .value_kind:     by_value
      - .address_space:  global
        .offset:         104
        .size:           8
        .value_kind:     global_buffer
      - .offset:         112
        .size:           8
        .value_kind:     by_value
      - .offset:         120
        .size:           4
        .value_kind:     by_value
      - .offset:         124
        .size:           4
        .value_kind:     by_value
      - .offset:         128
        .size:           1
        .value_kind:     by_value
    .group_segment_fixed_size: 8192
    .kernarg_segment_align: 8
    .kernarg_segment_size: 132
    .language:       OpenCL C
    .language_version:
      - 2
      - 0
    .max_flat_workgroup_size: 1024
    .name:           _ZN9rocsparseL30bellmm_general_blockdim_kernelILi32ELi32EiliiiEEv20rocsparse_operation_S1_20rocsparse_direction_T2_S3_NS_24const_host_device_scalarIT1_EES3_S3_PKS3_PKT3_PKT4_l16rocsparse_order_S6_PT5_lSF_21rocsparse_index_base_b
    .private_segment_fixed_size: 0
    .sgpr_count:     72
    .sgpr_spill_count: 0
    .symbol:         _ZN9rocsparseL30bellmm_general_blockdim_kernelILi32ELi32EiliiiEEv20rocsparse_operation_S1_20rocsparse_direction_T2_S3_NS_24const_host_device_scalarIT1_EES3_S3_PKS3_PKT3_PKT4_l16rocsparse_order_S6_PT5_lSF_21rocsparse_index_base_b.kd
    .uniform_work_group_size: 1
    .uses_dynamic_stack: false
    .vgpr_count:     68
    .vgpr_spill_count: 0
    .wavefront_size: 64
  - .agpr_count:     0
    .args:
      - .offset:         0
        .size:           4
        .value_kind:     by_value
      - .offset:         4
        .size:           4
        .value_kind:     by_value
      - .offset:         8
        .size:           4
        .value_kind:     by_value
      - .offset:         12
        .size:           4
        .value_kind:     by_value
      - .offset:         16
        .size:           4
        .value_kind:     by_value
      - .offset:         24
        .size:           8
        .value_kind:     by_value
      - .offset:         32
        .size:           4
        .value_kind:     by_value
      - .offset:         36
        .size:           4
        .value_kind:     by_value
      - .actual_access:  read_only
        .address_space:  global
        .offset:         40
        .size:           8
        .value_kind:     global_buffer
      - .actual_access:  read_only
        .address_space:  global
        .offset:         48
        .size:           8
        .value_kind:     global_buffer
      - .actual_access:  read_only
        .address_space:  global
        .offset:         56
        .size:           8
        .value_kind:     global_buffer
      - .offset:         64
        .size:           8
        .value_kind:     by_value
      - .offset:         72
        .size:           4
        .value_kind:     by_value
      - .offset:         80
        .size:           8
        .value_kind:     by_value
      - .address_space:  global
        .offset:         88
        .size:           8
        .value_kind:     global_buffer
      - .offset:         96
        .size:           8
        .value_kind:     by_value
      - .offset:         104
        .size:           4
        .value_kind:     by_value
      - .offset:         108
        .size:           4
        .value_kind:     by_value
      - .offset:         112
        .size:           1
        .value_kind:     by_value
    .group_segment_fixed_size: 8192
    .kernarg_segment_align: 8
    .kernarg_segment_size: 116
    .language:       OpenCL C
    .language_version:
      - 2
      - 0
    .max_flat_workgroup_size: 1024
    .name:           _ZN9rocsparseL30bellmm_general_blockdim_kernelILi32ELi32EfifffEEv20rocsparse_operation_S1_20rocsparse_direction_T2_S3_NS_24const_host_device_scalarIT1_EES3_S3_PKS3_PKT3_PKT4_l16rocsparse_order_S6_PT5_lSF_21rocsparse_index_base_b
    .private_segment_fixed_size: 0
    .sgpr_count:     58
    .sgpr_spill_count: 0
    .symbol:         _ZN9rocsparseL30bellmm_general_blockdim_kernelILi32ELi32EfifffEEv20rocsparse_operation_S1_20rocsparse_direction_T2_S3_NS_24const_host_device_scalarIT1_EES3_S3_PKS3_PKT3_PKT4_l16rocsparse_order_S6_PT5_lSF_21rocsparse_index_base_b.kd
    .uniform_work_group_size: 1
    .uses_dynamic_stack: false
    .vgpr_count:     44
    .vgpr_spill_count: 0
    .wavefront_size: 64
  - .agpr_count:     0
    .args:
      - .offset:         0
        .size:           4
        .value_kind:     by_value
      - .offset:         4
        .size:           4
        .value_kind:     by_value
      - .offset:         8
        .size:           4
        .value_kind:     by_value
      - .offset:         16
        .size:           8
        .value_kind:     by_value
      - .offset:         24
        .size:           8
        .value_kind:     by_value
      - .offset:         32
        .size:           8
        .value_kind:     by_value
      - .offset:         40
        .size:           8
        .value_kind:     by_value
      - .offset:         48
        .size:           8
        .value_kind:     by_value
      - .actual_access:  read_only
        .address_space:  global
        .offset:         56
        .size:           8
        .value_kind:     global_buffer
      - .actual_access:  read_only
        .address_space:  global
        .offset:         64
        .size:           8
        .value_kind:     global_buffer
      - .actual_access:  read_only
        .address_space:  global
        .offset:         72
        .size:           8
        .value_kind:     global_buffer
      - .offset:         80
        .size:           8
        .value_kind:     by_value
      - .offset:         88
        .size:           4
        .value_kind:     by_value
      - .offset:         96
        .size:           8
        .value_kind:     by_value
      - .address_space:  global
        .offset:         104
        .size:           8
        .value_kind:     global_buffer
      - .offset:         112
        .size:           8
        .value_kind:     by_value
      - .offset:         120
        .size:           4
        .value_kind:     by_value
      - .offset:         124
        .size:           4
        .value_kind:     by_value
      - .offset:         128
        .size:           1
        .value_kind:     by_value
    .group_segment_fixed_size: 8192
    .kernarg_segment_align: 8
    .kernarg_segment_size: 132
    .language:       OpenCL C
    .language_version:
      - 2
      - 0
    .max_flat_workgroup_size: 1024
    .name:           _ZN9rocsparseL30bellmm_general_blockdim_kernelILi32ELi32EflfffEEv20rocsparse_operation_S1_20rocsparse_direction_T2_S3_NS_24const_host_device_scalarIT1_EES3_S3_PKS3_PKT3_PKT4_l16rocsparse_order_S6_PT5_lSF_21rocsparse_index_base_b
    .private_segment_fixed_size: 0
    .sgpr_count:     72
    .sgpr_spill_count: 0
    .symbol:         _ZN9rocsparseL30bellmm_general_blockdim_kernelILi32ELi32EflfffEEv20rocsparse_operation_S1_20rocsparse_direction_T2_S3_NS_24const_host_device_scalarIT1_EES3_S3_PKS3_PKT3_PKT4_l16rocsparse_order_S6_PT5_lSF_21rocsparse_index_base_b.kd
    .uniform_work_group_size: 1
    .uses_dynamic_stack: false
    .vgpr_count:     52
    .vgpr_spill_count: 0
    .wavefront_size: 64
  - .agpr_count:     0
    .args:
      - .offset:         0
        .size:           4
        .value_kind:     by_value
      - .offset:         4
        .size:           4
        .value_kind:     by_value
      - .offset:         8
        .size:           4
        .value_kind:     by_value
      - .offset:         12
        .size:           4
        .value_kind:     by_value
      - .offset:         16
        .size:           4
        .value_kind:     by_value
      - .offset:         24
        .size:           8
        .value_kind:     by_value
      - .offset:         32
        .size:           4
        .value_kind:     by_value
      - .offset:         36
        .size:           4
        .value_kind:     by_value
      - .actual_access:  read_only
        .address_space:  global
        .offset:         40
        .size:           8
        .value_kind:     global_buffer
      - .actual_access:  read_only
        .address_space:  global
        .offset:         48
        .size:           8
        .value_kind:     global_buffer
      - .actual_access:  read_only
        .address_space:  global
        .offset:         56
        .size:           8
        .value_kind:     global_buffer
      - .offset:         64
        .size:           8
        .value_kind:     by_value
      - .offset:         72
        .size:           4
        .value_kind:     by_value
      - .offset:         80
        .size:           8
        .value_kind:     by_value
      - .address_space:  global
        .offset:         88
        .size:           8
        .value_kind:     global_buffer
      - .offset:         96
        .size:           8
        .value_kind:     by_value
      - .offset:         104
        .size:           4
        .value_kind:     by_value
      - .offset:         108
        .size:           4
        .value_kind:     by_value
      - .offset:         112
        .size:           1
        .value_kind:     by_value
    .group_segment_fixed_size: 16384
    .kernarg_segment_align: 8
    .kernarg_segment_size: 116
    .language:       OpenCL C
    .language_version:
      - 2
      - 0
    .max_flat_workgroup_size: 1024
    .name:           _ZN9rocsparseL30bellmm_general_blockdim_kernelILi32ELi32EdidddEEv20rocsparse_operation_S1_20rocsparse_direction_T2_S3_NS_24const_host_device_scalarIT1_EES3_S3_PKS3_PKT3_PKT4_l16rocsparse_order_S6_PT5_lSF_21rocsparse_index_base_b
    .private_segment_fixed_size: 0
    .sgpr_count:     56
    .sgpr_spill_count: 0
    .symbol:         _ZN9rocsparseL30bellmm_general_blockdim_kernelILi32ELi32EdidddEEv20rocsparse_operation_S1_20rocsparse_direction_T2_S3_NS_24const_host_device_scalarIT1_EES3_S3_PKS3_PKT3_PKT4_l16rocsparse_order_S6_PT5_lSF_21rocsparse_index_base_b.kd
    .uniform_work_group_size: 1
    .uses_dynamic_stack: false
    .vgpr_count:     54
    .vgpr_spill_count: 0
    .wavefront_size: 64
  - .agpr_count:     0
    .args:
      - .offset:         0
        .size:           4
        .value_kind:     by_value
      - .offset:         4
        .size:           4
        .value_kind:     by_value
      - .offset:         8
        .size:           4
        .value_kind:     by_value
      - .offset:         16
        .size:           8
        .value_kind:     by_value
      - .offset:         24
        .size:           8
        .value_kind:     by_value
      - .offset:         32
        .size:           8
        .value_kind:     by_value
      - .offset:         40
        .size:           8
        .value_kind:     by_value
      - .offset:         48
        .size:           8
        .value_kind:     by_value
      - .actual_access:  read_only
        .address_space:  global
        .offset:         56
        .size:           8
        .value_kind:     global_buffer
      - .actual_access:  read_only
        .address_space:  global
        .offset:         64
        .size:           8
        .value_kind:     global_buffer
      - .actual_access:  read_only
        .address_space:  global
        .offset:         72
        .size:           8
        .value_kind:     global_buffer
      - .offset:         80
        .size:           8
        .value_kind:     by_value
      - .offset:         88
        .size:           4
        .value_kind:     by_value
      - .offset:         96
        .size:           8
        .value_kind:     by_value
      - .address_space:  global
        .offset:         104
        .size:           8
        .value_kind:     global_buffer
      - .offset:         112
        .size:           8
        .value_kind:     by_value
      - .offset:         120
        .size:           4
        .value_kind:     by_value
      - .offset:         124
        .size:           4
        .value_kind:     by_value
      - .offset:         128
        .size:           1
        .value_kind:     by_value
    .group_segment_fixed_size: 16384
    .kernarg_segment_align: 8
    .kernarg_segment_size: 132
    .language:       OpenCL C
    .language_version:
      - 2
      - 0
    .max_flat_workgroup_size: 1024
    .name:           _ZN9rocsparseL30bellmm_general_blockdim_kernelILi32ELi32EdldddEEv20rocsparse_operation_S1_20rocsparse_direction_T2_S3_NS_24const_host_device_scalarIT1_EES3_S3_PKS3_PKT3_PKT4_l16rocsparse_order_S6_PT5_lSF_21rocsparse_index_base_b
    .private_segment_fixed_size: 0
    .sgpr_count:     70
    .sgpr_spill_count: 0
    .symbol:         _ZN9rocsparseL30bellmm_general_blockdim_kernelILi32ELi32EdldddEEv20rocsparse_operation_S1_20rocsparse_direction_T2_S3_NS_24const_host_device_scalarIT1_EES3_S3_PKS3_PKT3_PKT4_l16rocsparse_order_S6_PT5_lSF_21rocsparse_index_base_b.kd
    .uniform_work_group_size: 1
    .uses_dynamic_stack: false
    .vgpr_count:     64
    .vgpr_spill_count: 0
    .wavefront_size: 64
  - .agpr_count:     0
    .args:
      - .offset:         0
        .size:           4
        .value_kind:     by_value
      - .offset:         4
        .size:           4
        .value_kind:     by_value
      - .offset:         8
        .size:           4
        .value_kind:     by_value
      - .offset:         12
        .size:           4
        .value_kind:     by_value
      - .offset:         16
        .size:           4
        .value_kind:     by_value
      - .offset:         24
        .size:           8
        .value_kind:     by_value
      - .offset:         32
        .size:           4
        .value_kind:     by_value
      - .offset:         36
        .size:           4
        .value_kind:     by_value
      - .actual_access:  read_only
        .address_space:  global
        .offset:         40
        .size:           8
        .value_kind:     global_buffer
      - .actual_access:  read_only
        .address_space:  global
        .offset:         48
        .size:           8
        .value_kind:     global_buffer
      - .actual_access:  read_only
        .address_space:  global
        .offset:         56
        .size:           8
        .value_kind:     global_buffer
      - .offset:         64
        .size:           8
        .value_kind:     by_value
      - .offset:         72
        .size:           4
        .value_kind:     by_value
      - .offset:         80
        .size:           8
        .value_kind:     by_value
      - .address_space:  global
        .offset:         88
        .size:           8
        .value_kind:     global_buffer
      - .offset:         96
        .size:           8
        .value_kind:     by_value
      - .offset:         104
        .size:           4
        .value_kind:     by_value
      - .offset:         108
        .size:           4
        .value_kind:     by_value
      - .offset:         112
        .size:           1
        .value_kind:     by_value
    .group_segment_fixed_size: 16384
    .kernarg_segment_align: 8
    .kernarg_segment_size: 116
    .language:       OpenCL C
    .language_version:
      - 2
      - 0
    .max_flat_workgroup_size: 1024
    .name:           _ZN9rocsparseL30bellmm_general_blockdim_kernelILi32ELi32E21rocsparse_complex_numIfEiS2_S2_S2_EEv20rocsparse_operation_S3_20rocsparse_direction_T2_S5_NS_24const_host_device_scalarIT1_EES5_S5_PKS5_PKT3_PKT4_l16rocsparse_order_S8_PT5_lSH_21rocsparse_index_base_b
    .private_segment_fixed_size: 0
    .sgpr_count:     62
    .sgpr_spill_count: 0
    .symbol:         _ZN9rocsparseL30bellmm_general_blockdim_kernelILi32ELi32E21rocsparse_complex_numIfEiS2_S2_S2_EEv20rocsparse_operation_S3_20rocsparse_direction_T2_S5_NS_24const_host_device_scalarIT1_EES5_S5_PKS5_PKT3_PKT4_l16rocsparse_order_S8_PT5_lSH_21rocsparse_index_base_b.kd
    .uniform_work_group_size: 1
    .uses_dynamic_stack: false
    .vgpr_count:     56
    .vgpr_spill_count: 0
    .wavefront_size: 64
  - .agpr_count:     0
    .args:
      - .offset:         0
        .size:           4
        .value_kind:     by_value
      - .offset:         4
        .size:           4
        .value_kind:     by_value
      - .offset:         8
        .size:           4
        .value_kind:     by_value
      - .offset:         16
        .size:           8
        .value_kind:     by_value
      - .offset:         24
        .size:           8
        .value_kind:     by_value
      - .offset:         32
        .size:           8
        .value_kind:     by_value
      - .offset:         40
        .size:           8
        .value_kind:     by_value
      - .offset:         48
        .size:           8
        .value_kind:     by_value
      - .actual_access:  read_only
        .address_space:  global
        .offset:         56
        .size:           8
        .value_kind:     global_buffer
      - .actual_access:  read_only
        .address_space:  global
        .offset:         64
        .size:           8
        .value_kind:     global_buffer
      - .actual_access:  read_only
        .address_space:  global
        .offset:         72
        .size:           8
        .value_kind:     global_buffer
      - .offset:         80
        .size:           8
        .value_kind:     by_value
      - .offset:         88
        .size:           4
        .value_kind:     by_value
      - .offset:         96
        .size:           8
        .value_kind:     by_value
      - .address_space:  global
        .offset:         104
        .size:           8
        .value_kind:     global_buffer
      - .offset:         112
        .size:           8
        .value_kind:     by_value
      - .offset:         120
        .size:           4
        .value_kind:     by_value
      - .offset:         124
        .size:           4
        .value_kind:     by_value
      - .offset:         128
        .size:           1
        .value_kind:     by_value
    .group_segment_fixed_size: 16384
    .kernarg_segment_align: 8
    .kernarg_segment_size: 132
    .language:       OpenCL C
    .language_version:
      - 2
      - 0
    .max_flat_workgroup_size: 1024
    .name:           _ZN9rocsparseL30bellmm_general_blockdim_kernelILi32ELi32E21rocsparse_complex_numIfElS2_S2_S2_EEv20rocsparse_operation_S3_20rocsparse_direction_T2_S5_NS_24const_host_device_scalarIT1_EES5_S5_PKS5_PKT3_PKT4_l16rocsparse_order_S8_PT5_lSH_21rocsparse_index_base_b
    .private_segment_fixed_size: 0
    .sgpr_count:     76
    .sgpr_spill_count: 0
    .symbol:         _ZN9rocsparseL30bellmm_general_blockdim_kernelILi32ELi32E21rocsparse_complex_numIfElS2_S2_S2_EEv20rocsparse_operation_S3_20rocsparse_direction_T2_S5_NS_24const_host_device_scalarIT1_EES5_S5_PKS5_PKT3_PKT4_l16rocsparse_order_S8_PT5_lSH_21rocsparse_index_base_b.kd
    .uniform_work_group_size: 1
    .uses_dynamic_stack: false
    .vgpr_count:     64
    .vgpr_spill_count: 0
    .wavefront_size: 64
  - .agpr_count:     0
    .args:
      - .offset:         0
        .size:           4
        .value_kind:     by_value
      - .offset:         4
        .size:           4
        .value_kind:     by_value
      - .offset:         8
        .size:           4
        .value_kind:     by_value
      - .offset:         12
        .size:           4
        .value_kind:     by_value
      - .offset:         16
        .size:           4
        .value_kind:     by_value
      - .offset:         24
        .size:           16
        .value_kind:     by_value
      - .offset:         40
        .size:           4
        .value_kind:     by_value
      - .offset:         44
        .size:           4
        .value_kind:     by_value
      - .actual_access:  read_only
        .address_space:  global
        .offset:         48
        .size:           8
        .value_kind:     global_buffer
      - .actual_access:  read_only
        .address_space:  global
        .offset:         56
        .size:           8
        .value_kind:     global_buffer
      - .actual_access:  read_only
        .address_space:  global
        .offset:         64
        .size:           8
        .value_kind:     global_buffer
      - .offset:         72
        .size:           8
        .value_kind:     by_value
      - .offset:         80
        .size:           4
        .value_kind:     by_value
      - .offset:         88
        .size:           16
        .value_kind:     by_value
      - .address_space:  global
        .offset:         104
        .size:           8
        .value_kind:     global_buffer
      - .offset:         112
        .size:           8
        .value_kind:     by_value
      - .offset:         120
        .size:           4
        .value_kind:     by_value
      - .offset:         124
        .size:           4
        .value_kind:     by_value
      - .offset:         128
        .size:           1
        .value_kind:     by_value
    .group_segment_fixed_size: 32768
    .kernarg_segment_align: 8
    .kernarg_segment_size: 132
    .language:       OpenCL C
    .language_version:
      - 2
      - 0
    .max_flat_workgroup_size: 1024
    .name:           _ZN9rocsparseL30bellmm_general_blockdim_kernelILi32ELi32E21rocsparse_complex_numIdEiS2_S2_S2_EEv20rocsparse_operation_S3_20rocsparse_direction_T2_S5_NS_24const_host_device_scalarIT1_EES5_S5_PKS5_PKT3_PKT4_l16rocsparse_order_S8_PT5_lSH_21rocsparse_index_base_b
    .private_segment_fixed_size: 24
    .sgpr_count:     68
    .sgpr_spill_count: 0
    .symbol:         _ZN9rocsparseL30bellmm_general_blockdim_kernelILi32ELi32E21rocsparse_complex_numIdEiS2_S2_S2_EEv20rocsparse_operation_S3_20rocsparse_direction_T2_S5_NS_24const_host_device_scalarIT1_EES5_S5_PKS5_PKT3_PKT4_l16rocsparse_order_S8_PT5_lSH_21rocsparse_index_base_b.kd
    .uniform_work_group_size: 1
    .uses_dynamic_stack: false
    .vgpr_count:     70
    .vgpr_spill_count: 0
    .wavefront_size: 64
  - .agpr_count:     0
    .args:
      - .offset:         0
        .size:           4
        .value_kind:     by_value
      - .offset:         4
        .size:           4
        .value_kind:     by_value
      - .offset:         8
        .size:           4
        .value_kind:     by_value
      - .offset:         16
        .size:           8
        .value_kind:     by_value
      - .offset:         24
        .size:           8
        .value_kind:     by_value
      - .offset:         32
        .size:           16
        .value_kind:     by_value
      - .offset:         48
        .size:           8
        .value_kind:     by_value
      - .offset:         56
        .size:           8
        .value_kind:     by_value
      - .actual_access:  read_only
        .address_space:  global
        .offset:         64
        .size:           8
        .value_kind:     global_buffer
      - .actual_access:  read_only
        .address_space:  global
        .offset:         72
        .size:           8
        .value_kind:     global_buffer
      - .actual_access:  read_only
        .address_space:  global
        .offset:         80
        .size:           8
        .value_kind:     global_buffer
      - .offset:         88
        .size:           8
        .value_kind:     by_value
      - .offset:         96
        .size:           4
        .value_kind:     by_value
      - .offset:         104
        .size:           16
        .value_kind:     by_value
      - .address_space:  global
        .offset:         120
        .size:           8
        .value_kind:     global_buffer
      - .offset:         128
        .size:           8
        .value_kind:     by_value
      - .offset:         136
        .size:           4
        .value_kind:     by_value
      - .offset:         140
        .size:           4
        .value_kind:     by_value
      - .offset:         144
        .size:           1
        .value_kind:     by_value
    .group_segment_fixed_size: 32768
    .kernarg_segment_align: 8
    .kernarg_segment_size: 148
    .language:       OpenCL C
    .language_version:
      - 2
      - 0
    .max_flat_workgroup_size: 1024
    .name:           _ZN9rocsparseL30bellmm_general_blockdim_kernelILi32ELi32E21rocsparse_complex_numIdElS2_S2_S2_EEv20rocsparse_operation_S3_20rocsparse_direction_T2_S5_NS_24const_host_device_scalarIT1_EES5_S5_PKS5_PKT3_PKT4_l16rocsparse_order_S8_PT5_lSH_21rocsparse_index_base_b
    .private_segment_fixed_size: 24
    .sgpr_count:     80
    .sgpr_spill_count: 0
    .symbol:         _ZN9rocsparseL30bellmm_general_blockdim_kernelILi32ELi32E21rocsparse_complex_numIdElS2_S2_S2_EEv20rocsparse_operation_S3_20rocsparse_direction_T2_S5_NS_24const_host_device_scalarIT1_EES5_S5_PKS5_PKT3_PKT4_l16rocsparse_order_S8_PT5_lSH_21rocsparse_index_base_b.kd
    .uniform_work_group_size: 1
    .uses_dynamic_stack: false
    .vgpr_count:     80
    .vgpr_spill_count: 0
    .wavefront_size: 64
amdhsa.target:   amdgcn-amd-amdhsa--gfx90a
amdhsa.version:
  - 1
  - 2
...

	.end_amdgpu_metadata
